;; amdgpu-corpus repo=ROCm/rocFFT kind=compiled arch=gfx1100 opt=O3
	.text
	.amdgcn_target "amdgcn-amd-amdhsa--gfx1100"
	.amdhsa_code_object_version 6
	.protected	bluestein_single_back_len363_dim1_dp_op_CI_CI ; -- Begin function bluestein_single_back_len363_dim1_dp_op_CI_CI
	.globl	bluestein_single_back_len363_dim1_dp_op_CI_CI
	.p2align	8
	.type	bluestein_single_back_len363_dim1_dp_op_CI_CI,@function
bluestein_single_back_len363_dim1_dp_op_CI_CI: ; @bluestein_single_back_len363_dim1_dp_op_CI_CI
; %bb.0:
	s_load_b128 s[16:19], s[0:1], 0x28
	v_mul_u32_u24_e32 v1, 0x7c2, v0
	s_mov_b32 s2, exec_lo
	s_delay_alu instid0(VALU_DEP_1) | instskip(NEXT) | instid1(VALU_DEP_1)
	v_lshrrev_b32_e32 v1, 16, v1
	v_mad_u64_u32 v[164:165], null, s15, 3, v[1:2]
	v_mov_b32_e32 v165, 0
                                        ; kill: def $vgpr2 killed $sgpr0 killed $exec
	s_waitcnt lgkmcnt(0)
	s_delay_alu instid0(VALU_DEP_1)
	v_cmpx_gt_u64_e64 s[16:17], v[164:165]
	s_cbranch_execz .LBB0_10
; %bb.1:
	s_clause 0x1
	s_load_b128 s[4:7], s[0:1], 0x18
	s_load_b128 s[8:11], s[0:1], 0x0
	v_mul_lo_u16 v1, v1, 33
	s_mov_b32 s22, 0xf8bb580b
	s_mov_b32 s23, 0xbfe14ced
	;; [unrolled: 1-line block ×4, first 2 shown]
	v_sub_nc_u16 v68, v0, v1
	s_mov_b32 s24, 0xbb3a28a1
	s_mov_b32 s25, 0xbfe82f19
	;; [unrolled: 1-line block ×12, first 2 shown]
	s_waitcnt lgkmcnt(0)
	s_load_b128 s[12:15], s[4:5], 0x0
	s_waitcnt lgkmcnt(0)
	v_mad_u64_u32 v[16:17], null, s14, v164, 0
	v_and_b32_e32 v23, 0xffff, v68
	s_mul_hi_u32 s3, s12, 0x210
	s_mul_i32 s4, s12, 0x210
	s_delay_alu instid0(VALU_DEP_2) | instskip(NEXT) | instid1(VALU_DEP_2)
	v_mov_b32_e32 v0, v17
	v_mad_u64_u32 v[24:25], null, s12, v23, 0
	s_delay_alu instid0(VALU_DEP_1) | instskip(NEXT) | instid1(VALU_DEP_1)
	v_dual_mov_b32 v1, v25 :: v_dual_lshlrev_b32 v4, 4, v23
	v_add_co_u32 v255, s2, s8, v4
	s_delay_alu instid0(VALU_DEP_2)
	v_mad_u64_u32 v[2:3], null, s15, v164, v[0:1]
	v_add_co_ci_u32_e64 v3, null, s9, 0, s2
	s_mul_i32 s2, s13, 0x210
	s_mov_b32 s14, 0x7f775887
	s_add_i32 s3, s3, s2
	s_mov_b32 s15, 0xbfe4f49e
	s_delay_alu instid0(VALU_DEP_2)
	v_mad_u64_u32 v[18:19], null, s13, v23, v[1:2]
	v_mov_b32_e32 v17, v2
	s_clause 0x3
	global_load_b128 v[5:8], v4, s[8:9]
	global_load_b128 v[9:12], v4, s[8:9] offset:528
	global_load_b128 v[19:22], v4, s[8:9] offset:1056
	;; [unrolled: 1-line block ×3, first 2 shown]
	s_mov_b32 s12, 0x640f44db
	s_mov_b32 s13, 0xbfc2375f
	v_lshlrev_b64 v[26:27], 4, v[16:17]
	v_mov_b32_e32 v25, v18
	s_clause 0x1
	global_load_b128 v[13:16], v4, s[8:9] offset:2112
	global_load_b128 v[136:139], v4, s[8:9] offset:2640
	v_add_co_u32 v0, vcc_lo, s18, v26
	v_lshlrev_b64 v[24:25], 4, v[24:25]
	v_add_co_ci_u32_e32 v1, vcc_lo, s19, v27, vcc_lo
	s_mov_b32 s19, 0xbfed1bb4
	s_mov_b32 s18, 0x8eee2c13
	s_delay_alu instid0(VALU_DEP_2) | instskip(NEXT) | instid1(VALU_DEP_2)
	v_add_co_u32 v32, vcc_lo, v0, v24
	v_add_co_ci_u32_e32 v33, vcc_lo, v1, v25, vcc_lo
	s_clause 0x1
	global_load_b128 v[24:27], v4, s[8:9] offset:3168
	global_load_b128 v[140:143], v4, s[8:9] offset:3696
	v_add_co_u32 v34, vcc_lo, v32, s4
	v_add_co_ci_u32_e32 v35, vcc_lo, s3, v33, vcc_lo
	global_load_b128 v[44:47], v[32:33], off
	v_add_co_u32 v36, vcc_lo, v34, s4
	v_add_co_ci_u32_e32 v37, vcc_lo, s3, v35, vcc_lo
	v_add_co_u32 v0, vcc_lo, 0x1000, v255
	v_add_co_ci_u32_e32 v1, vcc_lo, 0, v3, vcc_lo
	s_delay_alu instid0(VALU_DEP_4) | instskip(NEXT) | instid1(VALU_DEP_4)
	v_add_co_u32 v38, vcc_lo, v36, s4
	v_add_co_ci_u32_e32 v39, vcc_lo, s3, v37, vcc_lo
	scratch_store_b32 off, v3, off offset:200 ; 4-byte Folded Spill
	v_add_co_u32 v32, vcc_lo, v38, s4
	v_add_co_ci_u32_e32 v33, vcc_lo, s3, v39, vcc_lo
	s_clause 0x1
	global_load_b128 v[48:51], v[34:35], off
	global_load_b128 v[52:55], v[36:37], off
	v_add_co_u32 v34, vcc_lo, v32, s4
	v_add_co_ci_u32_e32 v35, vcc_lo, s3, v33, vcc_lo
	s_clause 0x1
	global_load_b128 v[56:59], v[38:39], off
	global_load_b128 v[60:63], v[32:33], off
	v_add_co_u32 v32, vcc_lo, v34, s4
	v_add_co_ci_u32_e32 v33, vcc_lo, s3, v35, vcc_lo
	global_load_b128 v[64:67], v[34:35], off
	v_add_co_u32 v34, vcc_lo, v32, s4
	v_add_co_ci_u32_e32 v35, vcc_lo, s3, v33, vcc_lo
	;; [unrolled: 3-line block ×5, first 2 shown]
	s_clause 0x1
	global_load_b128 v[36:39], v[0:1], off offset:128
	global_load_b128 v[32:35], v[0:1], off offset:656
	global_load_b128 v[81:84], v[40:41], off
	scratch_store_b64 off, v[0:1], off offset:212 ; 8-byte Folded Spill
	global_load_b128 v[40:43], v[0:1], off offset:1184
	global_load_b128 v[85:88], v[85:86], off
	v_mul_hi_u32 v0, 0xaaaaaaab, v164
	s_load_b128 s[4:7], s[6:7], 0x0
	s_mov_b32 s2, 0x8764f0ba
	s_mov_b32 s8, 0xd9c712b6
	s_mov_b32 s3, 0x3feaeb8c
	s_mov_b32 s9, 0x3fda9628
	v_cmp_gt_u16_e32 vcc_lo, 22, v68
	s_delay_alu instid0(VALU_DEP_2) | instskip(NEXT) | instid1(VALU_DEP_1)
	v_lshrrev_b32_e32 v0, 1, v0
	v_lshl_add_u32 v0, v0, 1, v0
	s_delay_alu instid0(VALU_DEP_1) | instskip(NEXT) | instid1(VALU_DEP_1)
	v_sub_nc_u32_e32 v0, v164, v0
	v_mul_u32_u24_e32 v0, 0x16b, v0
	s_delay_alu instid0(VALU_DEP_1) | instskip(SKIP_1) | instid1(VALU_DEP_2)
	v_lshlrev_b32_e32 v1, 4, v0
	v_mul_lo_u16 v0, v68, 11
	v_add_nc_u32_e32 v166, v4, v1
	s_delay_alu instid0(VALU_DEP_2)
	v_and_b32_e32 v0, 0xffff, v0
	s_waitcnt vmcnt(21)
	scratch_store_b128 off, v[5:8], off offset:20 ; 16-byte Folded Spill
	s_waitcnt vmcnt(20)
	scratch_store_b128 off, v[9:12], off offset:36 ; 16-byte Folded Spill
	;; [unrolled: 2-line block ×8, first 2 shown]
	s_waitcnt vmcnt(13)
	v_mul_f64 v[89:90], v[46:47], v[7:8]
	v_mul_f64 v[91:92], v[44:45], v[7:8]
	s_waitcnt vmcnt(12)
	v_mul_f64 v[93:94], v[50:51], v[11:12]
	v_mul_f64 v[95:96], v[48:49], v[11:12]
	;; [unrolled: 3-line block ×8, first 2 shown]
	v_fma_f64 v[44:45], v[44:45], v[5:6], v[89:90]
	v_fma_f64 v[46:47], v[46:47], v[5:6], -v[91:92]
	s_waitcnt vmcnt(4)
	v_mul_f64 v[121:122], v[79:80], v[38:39]
	v_mul_f64 v[126:127], v[77:78], v[38:39]
	s_waitcnt vmcnt(2)
	v_mul_f64 v[128:129], v[83:84], v[34:35]
	v_mul_f64 v[130:131], v[81:82], v[34:35]
	s_waitcnt vmcnt(0)
	v_mul_f64 v[132:133], v[87:88], v[42:43]
	v_mul_f64 v[134:135], v[85:86], v[42:43]
	s_clause 0x2
	scratch_store_b128 off, v[36:39], off offset:168
	scratch_store_b128 off, v[32:35], off offset:152
	;; [unrolled: 1-line block ×3, first 2 shown]
	v_fma_f64 v[48:49], v[48:49], v[9:10], v[93:94]
	v_fma_f64 v[50:51], v[50:51], v[9:10], -v[95:96]
	v_fma_f64 v[52:53], v[52:53], v[19:20], v[97:98]
	v_fma_f64 v[54:55], v[54:55], v[19:20], -v[99:100]
	;; [unrolled: 2-line block ×10, first 2 shown]
	ds_store_b128 v166, v[44:47]
	ds_store_b128 v166, v[48:51] offset:528
	ds_store_b128 v166, v[52:55] offset:1056
	;; [unrolled: 1-line block ×10, first 2 shown]
	s_waitcnt lgkmcnt(0)
	s_waitcnt_vscnt null, 0x0
	s_barrier
	buffer_gl0_inv
	ds_load_b128 v[48:51], v166
	ds_load_b128 v[69:72], v166 offset:528
	ds_load_b128 v[44:47], v166 offset:5280
	;; [unrolled: 1-line block ×10, first 2 shown]
	scratch_store_b32 off, v1, off          ; 4-byte Folded Spill
	s_waitcnt lgkmcnt(0)
	s_waitcnt_vscnt null, 0x0
	s_barrier
	buffer_gl0_inv
	v_add_f64 v[89:90], v[48:49], v[69:70]
	v_add_f64 v[91:92], v[50:51], v[71:72]
	v_add_f64 v[93:94], v[71:72], -v[46:47]
	v_add_f64 v[95:96], v[69:70], -v[44:45]
	;; [unrolled: 1-line block ×4, first 2 shown]
	v_add_f64 v[105:106], v[77:78], v[56:57]
	v_add_f64 v[107:108], v[79:80], v[58:59]
	v_add_f64 v[97:98], v[73:74], -v[52:53]
	v_add_f64 v[99:100], v[75:76], -v[54:55]
	v_add_f64 v[69:70], v[69:70], v[44:45]
	v_add_f64 v[71:72], v[71:72], v[46:47]
	v_add_f64 v[121:122], v[85:86], -v[64:65]
	v_add_f64 v[109:110], v[81:82], v[60:61]
	v_add_f64 v[111:112], v[83:84], -v[62:63]
	v_add_f64 v[113:114], v[81:82], -v[60:61]
	v_add_f64 v[115:116], v[83:84], v[62:63]
	v_add_f64 v[117:118], v[85:86], v[64:65]
	;; [unrolled: 1-line block ×3, first 2 shown]
	v_add_f64 v[126:127], v[87:88], -v[66:67]
	v_add_f64 v[89:90], v[89:90], v[73:74]
	v_add_f64 v[91:92], v[91:92], v[75:76]
	v_mul_f64 v[128:129], v[93:94], s[22:23]
	v_mul_f64 v[130:131], v[95:96], s[22:23]
	;; [unrolled: 1-line block ×12, first 2 shown]
	s_mov_b32 s19, 0x3fed1bb4
	v_add_f64 v[73:74], v[73:74], v[52:53]
	v_add_f64 v[75:76], v[75:76], v[54:55]
	v_mul_f64 v[148:149], v[99:100], s[24:25]
	v_mul_f64 v[150:151], v[97:98], s[24:25]
	;; [unrolled: 1-line block ×21, first 2 shown]
	v_add_f64 v[77:78], v[89:90], v[77:78]
	v_add_f64 v[79:80], v[91:92], v[79:80]
	v_mul_f64 v[89:90], v[99:100], s[34:35]
	v_mul_f64 v[91:92], v[97:98], s[34:35]
	v_fma_f64 v[210:211], v[69:70], s[8:9], -v[132:133]
	v_fma_f64 v[212:213], v[71:72], s[8:9], v[134:135]
	v_fma_f64 v[214:215], v[69:70], s[12:13], -v[136:137]
	v_fma_f64 v[216:217], v[71:72], s[12:13], v[138:139]
	v_fma_f64 v[132:133], v[69:70], s[8:9], v[132:133]
	;; [unrolled: 1-line block ×3, first 2 shown]
	v_fma_f64 v[218:219], v[69:70], s[14:15], -v[140:141]
	v_fma_f64 v[220:221], v[71:72], s[14:15], v[142:143]
	v_mul_f64 v[99:100], v[99:100], s[28:29]
	v_mul_f64 v[97:98], v[97:98], s[28:29]
	v_fma_f64 v[140:141], v[69:70], s[14:15], v[140:141]
	v_fma_f64 v[222:223], v[69:70], s[16:17], -v[93:94]
	v_fma_f64 v[224:225], v[71:72], s[16:17], v[95:96]
	v_fma_f64 v[134:135], v[71:72], s[8:9], -v[134:135]
	v_fma_f64 v[138:139], v[71:72], s[12:13], -v[138:139]
	;; [unrolled: 1-line block ×4, first 2 shown]
	v_fma_f64 v[228:229], v[75:76], s[14:15], v[150:151]
	v_fma_f64 v[148:149], v[73:74], s[14:15], v[148:149]
	v_fma_f64 v[234:235], v[73:74], s[12:13], -v[152:153]
	v_fma_f64 v[236:237], v[75:76], s[12:13], v[154:155]
	v_fma_f64 v[152:153], v[73:74], s[12:13], v[152:153]
	v_fma_f64 v[150:151], v[75:76], s[14:15], -v[150:151]
	v_mul_f64 v[184:185], v[113:114], s[30:31]
	v_mul_f64 v[186:187], v[111:112], s[22:23]
	;; [unrolled: 1-line block ×7, first 2 shown]
	v_fma_f64 v[238:239], v[105:106], s[16:17], -v[162:163]
	v_fma_f64 v[240:241], v[107:108], s[16:17], v[168:169]
	v_fma_f64 v[162:163], v[105:106], s[16:17], v[162:163]
	v_fma_f64 v[168:169], v[107:108], s[16:17], -v[168:169]
	v_add_f64 v[77:78], v[77:78], v[81:82]
	v_add_f64 v[79:80], v[79:80], v[83:84]
	v_mul_f64 v[81:82], v[121:122], s[18:19]
	v_fma_f64 v[83:84], v[69:70], s[2:3], -v[128:129]
	v_fma_f64 v[121:122], v[71:72], s[2:3], v[130:131]
	v_fma_f64 v[128:129], v[69:70], s[2:3], v[128:129]
	v_fma_f64 v[130:131], v[71:72], s[2:3], -v[130:131]
	v_fma_f64 v[69:70], v[69:70], s[16:17], v[93:94]
	v_fma_f64 v[71:72], v[71:72], s[16:17], -v[95:96]
	v_fma_f64 v[93:94], v[73:74], s[8:9], -v[144:145]
	v_fma_f64 v[95:96], v[75:76], s[8:9], v[146:147]
	v_fma_f64 v[144:145], v[73:74], s[8:9], v[144:145]
	v_fma_f64 v[146:147], v[75:76], s[8:9], -v[146:147]
	v_add_f64 v[210:211], v[48:49], v[210:211]
	v_add_f64 v[212:213], v[50:51], v[212:213]
	v_fma_f64 v[230:231], v[73:74], s[16:17], -v[89:90]
	v_fma_f64 v[232:233], v[75:76], s[16:17], v[91:92]
	v_add_f64 v[214:215], v[48:49], v[214:215]
	v_add_f64 v[216:217], v[50:51], v[216:217]
	v_fma_f64 v[89:90], v[73:74], s[16:17], v[89:90]
	v_add_f64 v[132:133], v[48:49], v[132:133]
	v_add_f64 v[136:137], v[48:49], v[136:137]
	;; [unrolled: 1-line block ×7, first 2 shown]
	v_fma_f64 v[91:92], v[75:76], s[16:17], -v[91:92]
	v_add_f64 v[138:139], v[50:51], v[138:139]
	v_add_f64 v[134:135], v[50:51], v[134:135]
	v_fma_f64 v[242:243], v[105:106], s[2:3], -v[170:171]
	v_fma_f64 v[244:245], v[107:108], s[2:3], v[172:173]
	v_fma_f64 v[170:171], v[105:106], s[2:3], v[170:171]
	v_fma_f64 v[172:173], v[107:108], s[2:3], -v[172:173]
	v_fma_f64 v[250:251], v[105:106], s[8:9], -v[101:102]
	v_fma_f64 v[101:102], v[105:106], s[8:9], v[101:102]
	v_mul_f64 v[198:199], v[126:127], s[28:29]
	v_fma_f64 v[246:247], v[109:110], s[12:13], -v[182:183]
	v_add_f64 v[77:78], v[77:78], v[85:86]
	v_add_f64 v[79:80], v[79:80], v[87:88]
	v_fma_f64 v[85:86], v[75:76], s[12:13], -v[154:155]
	v_add_f64 v[83:84], v[48:49], v[83:84]
	v_fma_f64 v[87:88], v[73:74], s[2:3], -v[99:100]
	v_add_f64 v[128:129], v[48:49], v[128:129]
	v_add_f64 v[130:131], v[50:51], v[130:131]
	v_fma_f64 v[154:155], v[75:76], s[2:3], v[97:98]
	v_fma_f64 v[73:74], v[73:74], s[2:3], v[99:100]
	v_fma_f64 v[75:76], v[75:76], s[2:3], -v[97:98]
	v_add_f64 v[48:49], v[48:49], v[69:70]
	v_add_f64 v[69:70], v[50:51], v[71:72]
	;; [unrolled: 1-line block ×4, first 2 shown]
	v_fma_f64 v[97:98], v[105:106], s[12:13], -v[156:157]
	v_fma_f64 v[99:100], v[107:108], s[12:13], v[160:161]
	v_fma_f64 v[156:157], v[105:106], s[12:13], v[156:157]
	v_fma_f64 v[160:161], v[107:108], s[12:13], -v[160:161]
	v_fma_f64 v[121:122], v[105:106], s[14:15], v[174:175]
	v_fma_f64 v[142:143], v[107:108], s[14:15], -v[176:177]
	v_add_f64 v[132:133], v[148:149], v[132:133]
	v_add_f64 v[89:90], v[89:90], v[136:137]
	;; [unrolled: 1-line block ×5, first 2 shown]
	v_fma_f64 v[248:249], v[115:116], s[12:13], v[184:185]
	v_fma_f64 v[182:183], v[109:110], s[12:13], v[182:183]
	v_fma_f64 v[184:185], v[115:116], s[12:13], -v[184:185]
	v_mul_f64 v[202:203], v[126:127], s[24:25]
	v_mul_f64 v[194:195], v[126:127], s[26:27]
	;; [unrolled: 1-line block ×4, first 2 shown]
	v_add_f64 v[64:65], v[77:78], v[64:65]
	v_add_f64 v[66:67], v[79:80], v[66:67]
	v_fma_f64 v[77:78], v[105:106], s[14:15], -v[174:175]
	v_fma_f64 v[79:80], v[107:108], s[14:15], v[176:177]
	v_fma_f64 v[105:106], v[107:108], s[8:9], v[103:104]
	v_fma_f64 v[103:104], v[107:108], s[8:9], -v[103:104]
	v_add_f64 v[83:84], v[93:94], v[83:84]
	v_add_f64 v[93:94], v[144:145], v[128:129]
	;; [unrolled: 1-line block ×15, first 2 shown]
	v_fma_f64 v[174:175], v[109:110], s[14:15], -v[178:179]
	v_fma_f64 v[176:177], v[115:116], s[14:15], v[180:181]
	v_fma_f64 v[178:179], v[109:110], s[14:15], v[178:179]
	v_fma_f64 v[180:181], v[115:116], s[14:15], -v[180:181]
	v_fma_f64 v[85:86], v[109:110], s[2:3], v[186:187]
	v_fma_f64 v[91:92], v[115:116], s[2:3], -v[188:189]
	v_fma_f64 v[95:96], v[109:110], s[16:17], -v[190:191]
	v_fma_f64 v[134:135], v[115:116], s[16:17], v[192:193]
	v_fma_f64 v[138:139], v[109:110], s[16:17], v[190:191]
	v_fma_f64 v[150:151], v[115:116], s[16:17], -v[192:193]
	v_fma_f64 v[192:193], v[109:110], s[8:9], -v[111:112]
	v_add_f64 v[89:90], v[101:102], v[89:90]
	v_add_f64 v[101:102], v[242:243], v[136:137]
	;; [unrolled: 1-line block ×3, first 2 shown]
	v_fma_f64 v[154:155], v[117:118], s[16:17], -v[194:195]
	v_fma_f64 v[190:191], v[119:120], s[16:17], -v[196:197]
	v_fma_f64 v[140:141], v[117:118], s[14:15], v[202:203]
	v_add_f64 v[60:61], v[64:65], v[60:61]
	v_add_f64 v[62:63], v[66:67], v[62:63]
	v_fma_f64 v[64:65], v[109:110], s[2:3], -v[186:187]
	v_fma_f64 v[66:67], v[115:116], s[2:3], v[188:189]
	v_fma_f64 v[109:110], v[109:110], s[8:9], v[111:112]
	;; [unrolled: 1-line block ×3, first 2 shown]
	v_fma_f64 v[113:114], v[115:116], s[8:9], -v[113:114]
	v_add_f64 v[83:84], v[97:98], v[83:84]
	v_add_f64 v[97:98], v[160:161], v[107:108]
	;; [unrolled: 1-line block ×17, first 2 shown]
	v_fma_f64 v[103:104], v[117:118], s[14:15], -v[202:203]
	v_fma_f64 v[121:122], v[119:120], s[14:15], v[204:205]
	v_fma_f64 v[156:157], v[117:118], s[8:9], -v[126:127]
	v_fma_f64 v[160:161], v[119:120], s[8:9], v[81:82]
	v_fma_f64 v[186:187], v[119:120], s[16:17], v[196:197]
	;; [unrolled: 1-line block ×4, first 2 shown]
	v_fma_f64 v[99:100], v[119:120], s[2:3], -v[200:201]
	v_add_f64 v[85:86], v[85:86], v[89:90]
	v_add_f64 v[89:90], v[95:96], v[101:102]
	v_fma_f64 v[142:143], v[119:120], s[14:15], -v[204:205]
	v_fma_f64 v[144:145], v[117:118], s[12:13], -v[206:207]
	v_fma_f64 v[146:147], v[119:120], s[12:13], v[208:209]
	v_fma_f64 v[148:149], v[117:118], s[12:13], v[206:207]
	v_add_f64 v[56:57], v[60:61], v[56:57]
	v_add_f64 v[58:59], v[62:63], v[58:59]
	v_fma_f64 v[60:61], v[117:118], s[2:3], -v[198:199]
	v_fma_f64 v[62:63], v[119:120], s[2:3], v[200:201]
	v_fma_f64 v[152:153], v[119:120], s[12:13], -v[208:209]
	v_fma_f64 v[117:118], v[117:118], s[8:9], v[126:127]
	v_fma_f64 v[119:120], v[119:120], s[8:9], -v[81:82]
	v_add_f64 v[81:82], v[174:175], v[83:84]
	v_add_f64 v[97:98], v[180:181], v[97:98]
	;; [unrolled: 1-line block ×18, first 2 shown]
	s_load_b64 s[2:3], s[0:1], 0x38
	v_add_f64 v[130:131], v[56:57], v[52:53]
	v_add_f64 v[132:133], v[58:59], v[54:55]
	;; [unrolled: 1-line block ×22, first 2 shown]
	v_lshl_add_u32 v160, v0, 4, v1
                                        ; implicit-def: $vgpr120_vgpr121
	v_add_f64 v[44:45], v[130:131], v[44:45]
	v_add_f64 v[46:47], v[132:133], v[46:47]
	ds_store_b128 v160, v[52:55] offset:32
	ds_store_b128 v160, v[56:59] offset:48
	;; [unrolled: 1-line block ×9, first 2 shown]
	ds_store_b128 v160, v[44:47]
	ds_store_b128 v160, v[48:51] offset:16
	s_waitcnt lgkmcnt(0)
	s_barrier
	buffer_gl0_inv
	ds_load_b128 v[84:87], v166
	ds_load_b128 v[80:83], v166 offset:528
	ds_load_b128 v[104:107], v166 offset:3872
	;; [unrolled: 1-line block ×8, first 2 shown]
	s_and_saveexec_b32 s0, vcc_lo
	s_cbranch_execz .LBB0_3
; %bb.2:
	ds_load_b128 v[76:79], v166 offset:1584
	ds_load_b128 v[92:95], v166 offset:3520
	;; [unrolled: 1-line block ×3, first 2 shown]
.LBB0_3:
	s_or_b32 exec_lo, exec_lo, s0
	v_and_b32_e32 v0, 0xff, v23
	v_add_nc_u16 v1, v23, 33
	v_add_nc_u16 v2, v23, 0x42
	v_add_nc_u16 v4, v23, 0x63
	s_mov_b32 s0, 0xe8584caa
	v_mul_lo_u16 v0, 0x75, v0
	v_and_b32_e32 v3, 0xff, v1
	v_and_b32_e32 v5, 0xff, v2
	;; [unrolled: 1-line block ×3, first 2 shown]
	s_mov_b32 s1, 0x3febb67a
	v_lshrrev_b16 v0, 8, v0
	v_mul_lo_u16 v3, 0x75, v3
	v_mul_lo_u16 v5, 0x75, v5
	;; [unrolled: 1-line block ×3, first 2 shown]
	s_mov_b32 s9, 0xbfebb67a
	v_sub_nc_u16 v6, v23, v0
	v_lshrrev_b16 v3, 8, v3
	v_lshrrev_b16 v5, 8, v5
	v_lshrrev_b16 v7, 8, v7
	s_mov_b32 s8, s0
	v_lshrrev_b16 v6, 1, v6
	v_sub_nc_u16 v8, v1, v3
	v_sub_nc_u16 v9, v2, v5
	s_delay_alu instid0(VALU_DEP_3) | instskip(NEXT) | instid1(VALU_DEP_3)
	v_and_b32_e32 v6, 0x7f, v6
	v_lshrrev_b16 v8, 1, v8
	s_delay_alu instid0(VALU_DEP_3) | instskip(NEXT) | instid1(VALU_DEP_3)
	v_lshrrev_b16 v9, 1, v9
	v_add_nc_u16 v0, v6, v0
	v_sub_nc_u16 v6, v4, v7
	s_delay_alu instid0(VALU_DEP_4) | instskip(NEXT) | instid1(VALU_DEP_4)
	v_and_b32_e32 v8, 0x7f, v8
	v_and_b32_e32 v9, 0x7f, v9
	s_delay_alu instid0(VALU_DEP_4) | instskip(NEXT) | instid1(VALU_DEP_4)
	v_lshrrev_b16 v0, 3, v0
	v_lshrrev_b16 v6, 1, v6
	s_delay_alu instid0(VALU_DEP_4) | instskip(NEXT) | instid1(VALU_DEP_4)
	v_add_nc_u16 v3, v8, v3
	v_add_nc_u16 v5, v9, v5
	s_delay_alu instid0(VALU_DEP_4) | instskip(NEXT) | instid1(VALU_DEP_4)
	v_mul_lo_u16 v8, v0, 11
	v_and_b32_e32 v6, 0x7f, v6
	s_delay_alu instid0(VALU_DEP_4) | instskip(NEXT) | instid1(VALU_DEP_4)
	v_lshrrev_b16 v3, 3, v3
	v_lshrrev_b16 v5, 3, v5
	s_delay_alu instid0(VALU_DEP_4) | instskip(NEXT) | instid1(VALU_DEP_4)
	v_sub_nc_u16 v8, v23, v8
	v_add_nc_u16 v6, v6, v7
	s_delay_alu instid0(VALU_DEP_4) | instskip(SKIP_1) | instid1(VALU_DEP_4)
	v_mul_lo_u16 v7, v3, 11
	v_and_b32_e32 v3, 0xffff, v3
	v_lshlrev_b16 v9, 1, v8
	s_delay_alu instid0(VALU_DEP_4)
	v_lshrrev_b16 v10, 3, v6
	v_mul_lo_u16 v6, v5, 11
	v_sub_nc_u16 v1, v1, v7
	v_mad_u16 v0, v0, 33, v8
	v_and_b32_e32 v7, 0xfe, v9
	v_mul_lo_u16 v9, v10, 11
	v_sub_nc_u16 v2, v2, v6
	v_and_b32_e32 v1, 0xff, v1
	scratch_store_b32 off, v10, off offset:204 ; 4-byte Folded Spill
	v_lshlrev_b32_e32 v6, 4, v7
	v_sub_nc_u16 v4, v4, v9
	v_and_b32_e32 v2, 0xff, v2
	v_lshlrev_b32_e32 v7, 5, v1
	v_and_b32_e32 v0, 0xff, v0
	s_clause 0x1
	global_load_b128 v[64:67], v6, s[10:11]
	global_load_b128 v[60:63], v6, s[10:11] offset:16
	v_and_b32_e32 v6, 0xff, v4
	v_lshlrev_b32_e32 v4, 5, v2
	s_clause 0x1
	global_load_b128 v[72:75], v7, s[10:11]
	global_load_b128 v[68:71], v7, s[10:11] offset:16
	v_mul_u32_u24_e32 v3, 33, v3
	scratch_store_b32 off, v6, off offset:208 ; 4-byte Folded Spill
	v_lshlrev_b32_e32 v6, 5, v6
	s_clause 0x3
	global_load_b128 v[56:59], v4, s[10:11]
	global_load_b128 v[52:55], v4, s[10:11] offset:16
	global_load_b128 v[13:16], v6, s[10:11]
	global_load_b128 v[9:12], v6, s[10:11] offset:16
	v_and_b32_e32 v4, 0xffff, v5
	scratch_load_b32 v5, off, off           ; 4-byte Folded Reload
	v_mul_u32_u24_e32 v4, 33, v4
	s_waitcnt vmcnt(8) lgkmcnt(4)
	v_mul_f64 v[126:127], v[118:119], v[66:67]
	v_mul_f64 v[128:129], v[116:117], v[66:67]
	s_waitcnt vmcnt(7)
	v_mul_f64 v[130:131], v[106:107], v[62:63]
	v_mul_f64 v[132:133], v[104:105], v[62:63]
	s_waitcnt vmcnt(5)
	v_mul_f64 v[138:139], v[98:99], v[70:71]
	v_mul_f64 v[140:141], v[96:97], v[70:71]
	s_waitcnt lgkmcnt(2)
	v_mul_f64 v[134:135], v[114:115], v[74:75]
	v_mul_f64 v[136:137], v[112:113], v[74:75]
	s_waitcnt vmcnt(4) lgkmcnt(1)
	v_mul_f64 v[142:143], v[110:111], v[58:59]
	v_mul_f64 v[144:145], v[108:109], v[58:59]
	s_waitcnt vmcnt(3) lgkmcnt(0)
	v_mul_f64 v[146:147], v[102:103], v[54:55]
	v_mul_f64 v[148:149], v[100:101], v[54:55]
	s_waitcnt vmcnt(2)
	v_mul_f64 v[150:151], v[94:95], v[15:16]
	v_mul_f64 v[152:153], v[92:93], v[15:16]
	s_waitcnt vmcnt(1)
	v_mul_f64 v[154:155], v[122:123], v[11:12]
	v_mul_f64 v[156:157], v[120:121], v[11:12]
	scratch_store_b128 off, v[9:12], off offset:220 ; 16-byte Folded Spill
	v_fma_f64 v[116:117], v[116:117], v[64:65], -v[126:127]
	v_fma_f64 v[118:119], v[118:119], v[64:65], v[128:129]
	v_fma_f64 v[104:105], v[104:105], v[60:61], -v[130:131]
	v_fma_f64 v[106:107], v[106:107], v[60:61], v[132:133]
	;; [unrolled: 2-line block ×8, first 2 shown]
	v_add_f64 v[142:143], v[84:85], v[116:117]
	v_add_f64 v[100:101], v[116:117], v[104:105]
	;; [unrolled: 1-line block ×3, first 2 shown]
	v_add_f64 v[144:145], v[118:119], -v[106:107]
	v_add_f64 v[118:119], v[86:87], v[118:119]
	v_add_f64 v[120:121], v[112:113], v[126:127]
	;; [unrolled: 1-line block ×7, first 2 shown]
	v_add_f64 v[146:147], v[116:117], -v[104:105]
	v_add_f64 v[116:117], v[80:81], v[112:113]
	v_add_f64 v[138:139], v[96:97], v[92:93]
	;; [unrolled: 1-line block ×4, first 2 shown]
	v_add_f64 v[156:157], v[114:115], -v[128:129]
	v_add_f64 v[170:171], v[112:113], -v[126:127]
	;; [unrolled: 1-line block ×4, first 2 shown]
	v_fma_f64 v[154:155], v[100:101], -0.5, v[84:85]
	v_fma_f64 v[161:162], v[102:103], -0.5, v[86:87]
	v_add_f64 v[86:87], v[98:99], -v[94:95]
	v_add_f64 v[100:101], v[142:143], v[104:105]
	v_fma_f64 v[80:81], v[120:121], -0.5, v[80:81]
	v_fma_f64 v[82:83], v[122:123], -0.5, v[82:83]
	v_add_f64 v[102:103], v[118:119], v[106:107]
	v_add_f64 v[108:109], v[150:151], v[130:131]
	v_fma_f64 v[134:135], v[134:135], -0.5, v[88:89]
	v_fma_f64 v[136:137], v[136:137], -0.5, v[90:91]
	v_add_f64 v[90:91], v[96:97], -v[92:93]
	v_add_f64 v[104:105], v[116:117], v[126:127]
	v_fma_f64 v[84:85], v[138:139], -0.5, v[76:77]
	v_fma_f64 v[88:89], v[140:141], -0.5, v[78:79]
	v_add_f64 v[106:107], v[148:149], v[128:129]
	v_add_f64 v[110:111], v[152:153], v[132:133]
	v_fma_f64 v[112:113], v[144:145], s[0:1], v[154:155]
	v_fma_f64 v[114:115], v[146:147], s[8:9], v[161:162]
	v_fma_f64 v[116:117], v[144:145], s[8:9], v[154:155]
	v_fma_f64 v[118:119], v[146:147], s[0:1], v[161:162]
	v_fma_f64 v[120:121], v[156:157], s[0:1], v[80:81]
	v_fma_f64 v[122:123], v[170:171], s[8:9], v[82:83]
	v_fma_f64 v[126:127], v[156:157], s[8:9], v[80:81]
	v_fma_f64 v[128:129], v[170:171], s[0:1], v[82:83]
	v_fma_f64 v[130:131], v[172:173], s[0:1], v[134:135]
	v_fma_f64 v[132:133], v[174:175], s[8:9], v[136:137]
	v_fma_f64 v[134:135], v[172:173], s[8:9], v[134:135]
	v_fma_f64 v[136:137], v[174:175], s[0:1], v[136:137]
	v_fma_f64 v[9:10], v[86:87], s[8:9], v[84:85]
	v_fma_f64 v[11:12], v[90:91], s[0:1], v[88:89]
	s_waitcnt vmcnt(0)
	v_lshl_add_u32 v172, v0, 4, v5
	v_add_nc_u32_e32 v0, v3, v1
	v_add_nc_u32_e32 v1, v4, v2
	scratch_store_b128 off, v[13:16], off offset:236 ; 16-byte Folded Spill
	v_lshl_add_u32 v167, v0, 4, v5
	v_lshl_add_u32 v165, v1, 4, v5
	scratch_store_b128 off, v[9:12], off offset:4 ; 16-byte Folded Spill
	s_waitcnt_vscnt null, 0x0
	s_barrier
	buffer_gl0_inv
	ds_store_b128 v172, v[100:103]
	ds_store_b128 v172, v[112:115] offset:176
	ds_store_b128 v172, v[116:119] offset:352
	ds_store_b128 v167, v[104:107]
	ds_store_b128 v167, v[120:123] offset:176
	ds_store_b128 v167, v[126:129] offset:352
	;; [unrolled: 3-line block ×3, first 2 shown]
	s_and_saveexec_b32 s8, vcc_lo
	s_cbranch_execz .LBB0_5
; %bb.4:
	s_clause 0x1
	scratch_load_b32 v0, off, off offset:204
	scratch_load_b32 v1, off, off offset:208
	v_mul_f64 v[90:91], v[90:91], s[0:1]
	v_add_f64 v[98:99], v[78:79], v[98:99]
	v_add_f64 v[76:77], v[76:77], v[96:97]
	v_mul_f64 v[96:97], v[86:87], s[0:1]
	s_delay_alu instid0(VALU_DEP_4) | instskip(NEXT) | instid1(VALU_DEP_4)
	v_add_f64 v[78:79], v[88:89], -v[90:91]
	v_add_f64 v[88:89], v[98:99], v[94:95]
	s_delay_alu instid0(VALU_DEP_4) | instskip(NEXT) | instid1(VALU_DEP_4)
	v_add_f64 v[86:87], v[76:77], v[92:93]
	v_add_f64 v[76:77], v[96:97], v[84:85]
	s_waitcnt vmcnt(1)
	v_and_b32_e32 v0, 0xffff, v0
	s_delay_alu instid0(VALU_DEP_1) | instskip(SKIP_1) | instid1(VALU_DEP_1)
	v_mul_u32_u24_e32 v0, 33, v0
	s_waitcnt vmcnt(0)
	v_add_nc_u32_e32 v0, v0, v1
	scratch_load_b32 v1, off, off           ; 4-byte Folded Reload
	s_waitcnt vmcnt(0)
	v_lshl_add_u32 v0, v0, 4, v1
	ds_store_b128 v0, v[86:89]
	ds_store_b128 v0, v[76:79] offset:176
	scratch_load_b128 v[1:4], off, off offset:4 ; 16-byte Folded Reload
	s_waitcnt vmcnt(0)
	ds_store_b128 v0, v[1:4] offset:352
.LBB0_5:
	s_or_b32 exec_lo, exec_lo, s8
	v_mad_u64_u32 v[112:113], null, 0xa0, v23, s[10:11]
	scratch_store_b32 off, v23, off offset:116 ; 4-byte Folded Spill
	s_waitcnt lgkmcnt(0)
	s_waitcnt_vscnt null, 0x0
	s_barrier
	buffer_gl0_inv
	s_mov_b32 s26, 0xf8bb580b
	s_mov_b32 s14, 0x8eee2c13
	s_clause 0x3
	global_load_b128 v[84:87], v[112:113], off offset:352
	global_load_b128 v[76:79], v[112:113], off offset:496
	;; [unrolled: 1-line block ×4, first 2 shown]
	ds_load_b128 v[96:99], v166 offset:528
	ds_load_b128 v[173:176], v166
	ds_load_b128 v[100:103], v166 offset:5280
	s_mov_b32 s16, 0x43842ef
	s_mov_b32 s10, 0xbb3a28a1
	;; [unrolled: 1-line block ×26, first 2 shown]
	s_waitcnt vmcnt(3) lgkmcnt(2)
	v_mul_f64 v[104:105], v[98:99], v[86:87]
	v_mul_f64 v[106:107], v[96:97], v[86:87]
	s_waitcnt vmcnt(2) lgkmcnt(0)
	v_mul_f64 v[108:109], v[100:101], v[78:79]
	s_delay_alu instid0(VALU_DEP_3) | instskip(SKIP_1) | instid1(VALU_DEP_4)
	v_fma_f64 v[161:162], v[96:97], v[84:85], -v[104:105]
	v_mul_f64 v[96:97], v[102:103], v[78:79]
	v_fma_f64 v[181:182], v[98:99], v[84:85], v[106:107]
	s_delay_alu instid0(VALU_DEP_4) | instskip(NEXT) | instid1(VALU_DEP_3)
	v_fma_f64 v[120:121], v[102:103], v[76:77], v[108:109]
	v_fma_f64 v[122:123], v[100:101], v[76:77], -v[96:97]
	ds_load_b128 v[96:99], v166 offset:1056
	ds_load_b128 v[104:107], v166 offset:1584
	v_add_f64 v[209:210], v[181:182], v[120:121]
	v_add_f64 v[221:222], v[175:176], v[181:182]
	s_waitcnt vmcnt(1) lgkmcnt(1)
	v_mul_f64 v[100:101], v[98:99], v[90:91]
	v_add_f64 v[189:190], v[161:162], v[122:123]
	s_delay_alu instid0(VALU_DEP_2) | instskip(SKIP_1) | instid1(VALU_DEP_1)
	v_fma_f64 v[130:131], v[96:97], v[88:89], -v[100:101]
	v_mul_f64 v[96:97], v[96:97], v[90:91]
	v_fma_f64 v[132:133], v[98:99], v[88:89], v[96:97]
	ds_load_b128 v[96:99], v166 offset:4752
	ds_load_b128 v[114:117], v166 offset:4224
	s_waitcnt vmcnt(0) lgkmcnt(1)
	v_mul_f64 v[100:101], v[96:97], v[94:95]
	s_delay_alu instid0(VALU_DEP_1) | instskip(SKIP_1) | instid1(VALU_DEP_2)
	v_fma_f64 v[126:127], v[98:99], v[92:93], v[100:101]
	v_mul_f64 v[98:99], v[98:99], v[94:95]
	v_add_f64 v[231:232], v[132:133], v[126:127]
	s_delay_alu instid0(VALU_DEP_2)
	v_fma_f64 v[128:129], v[96:97], v[92:93], -v[98:99]
	s_clause 0x1
	global_load_b128 v[100:103], v[112:113], off offset:384
	global_load_b128 v[96:99], v[112:113], off offset:400
	v_add_f64 v[225:226], v[130:131], v[128:129]
	v_add_f64 v[229:230], v[130:131], -v[128:129]
	s_delay_alu instid0(VALU_DEP_1) | instskip(SKIP_3) | instid1(VALU_DEP_3)
	v_mul_f64 v[233:234], v[229:230], s[14:15]
	v_mul_f64 v[12:13], v[229:230], s[10:11]
	;; [unrolled: 1-line block ×4, first 2 shown]
	v_fma_f64 v[14:15], v[231:232], s[18:19], v[12:13]
	s_delay_alu instid0(VALU_DEP_3) | instskip(NEXT) | instid1(VALU_DEP_3)
	v_fma_f64 v[30:31], v[231:232], s[12:13], v[28:29]
	v_fma_f64 v[82:83], v[231:232], s[22:23], v[80:81]
	s_waitcnt vmcnt(1)
	v_mul_f64 v[108:109], v[106:107], v[102:103]
	s_delay_alu instid0(VALU_DEP_1) | instskip(SKIP_1) | instid1(VALU_DEP_1)
	v_fma_f64 v[138:139], v[104:105], v[100:101], -v[108:109]
	v_mul_f64 v[104:105], v[104:105], v[102:103]
	v_fma_f64 v[140:141], v[106:107], v[100:101], v[104:105]
	s_clause 0x1
	global_load_b128 v[108:111], v[112:113], off offset:464
	global_load_b128 v[104:107], v[112:113], off offset:448
	s_waitcnt vmcnt(1) lgkmcnt(0)
	v_mul_f64 v[118:119], v[114:115], v[110:111]
	s_delay_alu instid0(VALU_DEP_1) | instskip(SKIP_1) | instid1(VALU_DEP_2)
	v_fma_f64 v[134:135], v[116:117], v[108:109], v[118:119]
	v_mul_f64 v[116:117], v[116:117], v[110:111]
	v_add_f64 v[235:236], v[140:141], -v[134:135]
	s_delay_alu instid0(VALU_DEP_2)
	v_fma_f64 v[136:137], v[114:115], v[108:109], -v[116:117]
	ds_load_b128 v[114:117], v166 offset:2112
	ds_load_b128 v[152:155], v166 offset:2640
	v_add_f64 v[243:244], v[140:141], v[134:135]
	s_waitcnt lgkmcnt(1)
	v_mul_f64 v[118:119], v[116:117], v[98:99]
	v_mul_f64 v[239:240], v[235:236], s[16:17]
	v_add_f64 v[237:238], v[138:139], v[136:137]
	v_add_f64 v[241:242], v[138:139], -v[136:137]
	v_mul_f64 v[16:17], v[235:236], s[28:29]
	v_mul_f64 v[32:33], v[235:236], s[36:37]
	v_fma_f64 v[144:145], v[114:115], v[96:97], -v[118:119]
	v_mul_f64 v[114:115], v[114:115], v[98:99]
	v_mul_f64 v[245:246], v[241:242], s[16:17]
	;; [unrolled: 1-line block ×3, first 2 shown]
	v_fma_f64 v[18:19], v[237:238], s[12:13], -v[16:17]
	v_mul_f64 v[36:37], v[241:242], s[36:37]
	v_fma_f64 v[34:35], v[237:238], s[20:21], -v[32:33]
	v_mul_f64 v[44:45], v[241:242], s[26:27]
	v_fma_f64 v[146:147], v[116:117], v[96:97], v[114:115]
	ds_load_b128 v[114:117], v166 offset:3696
	ds_load_b128 v[177:180], v166 offset:3168
	v_fma_f64 v[22:23], v[243:244], s[12:13], v[20:21]
	s_waitcnt vmcnt(0) lgkmcnt(1)
	v_mul_f64 v[118:119], v[114:115], v[106:107]
	v_fma_f64 v[38:39], v[243:244], s[20:21], v[36:37]
	v_fma_f64 v[46:47], v[243:244], s[24:25], v[44:45]
	v_fma_f64 v[44:45], v[243:244], s[24:25], -v[44:45]
	s_delay_alu instid0(VALU_DEP_4) | instskip(SKIP_1) | instid1(VALU_DEP_2)
	v_fma_f64 v[142:143], v[116:117], v[104:105], v[118:119]
	v_mul_f64 v[116:117], v[116:117], v[106:107]
	v_add_f64 v[247:248], v[146:147], -v[142:143]
	s_delay_alu instid0(VALU_DEP_2)
	v_fma_f64 v[148:149], v[114:115], v[104:105], -v[116:117]
	s_clause 0x1
	global_load_b128 v[116:119], v[112:113], off offset:416
	global_load_b128 v[112:115], v[112:113], off offset:432
	v_add_f64 v[168:169], v[146:147], v[142:143]
	v_mul_f64 v[251:252], v[247:248], s[10:11]
	v_add_f64 v[249:250], v[144:145], v[148:149]
	v_add_f64 v[253:254], v[144:145], -v[148:149]
	s_delay_alu instid0(VALU_DEP_1) | instskip(SKIP_3) | instid1(VALU_DEP_3)
	v_mul_f64 v[158:159], v[253:254], s[10:11]
	v_mul_f64 v[24:25], v[253:254], s[30:31]
	;; [unrolled: 1-line block ×4, first 2 shown]
	v_fma_f64 v[26:27], v[168:169], s[22:23], v[24:25]
	s_delay_alu instid0(VALU_DEP_3) | instskip(NEXT) | instid1(VALU_DEP_3)
	v_fma_f64 v[42:43], v[168:169], s[24:25], v[40:41]
	v_fma_f64 v[50:51], v[168:169], s[12:13], v[48:49]
	s_waitcnt vmcnt(1)
	v_mul_f64 v[150:151], v[154:155], v[118:119]
	s_waitcnt vmcnt(0) lgkmcnt(0)
	v_mul_f64 v[156:157], v[177:178], v[114:115]
	s_delay_alu instid0(VALU_DEP_2) | instskip(SKIP_1) | instid1(VALU_DEP_3)
	v_fma_f64 v[150:151], v[152:153], v[116:117], -v[150:151]
	v_mul_f64 v[152:153], v[152:153], v[118:119]
	v_fma_f64 v[156:157], v[179:180], v[112:113], v[156:157]
	s_delay_alu instid0(VALU_DEP_2) | instskip(SKIP_1) | instid1(VALU_DEP_2)
	v_fma_f64 v[152:153], v[154:155], v[116:117], v[152:153]
	v_mul_f64 v[154:155], v[179:180], v[114:115]
	v_add_f64 v[170:171], v[152:153], -v[156:157]
	s_delay_alu instid0(VALU_DEP_2) | instskip(SKIP_2) | instid1(VALU_DEP_4)
	v_fma_f64 v[154:155], v[177:178], v[112:113], -v[154:155]
	v_add_f64 v[177:178], v[181:182], -v[120:121]
	v_add_f64 v[6:7], v[152:153], v[156:157]
	v_mul_f64 v[2:3], v[170:171], s[8:9]
	s_delay_alu instid0(VALU_DEP_4) | instskip(NEXT) | instid1(VALU_DEP_4)
	v_add_f64 v[4:5], v[150:151], -v[154:155]
	v_mul_f64 v[179:180], v[177:178], s[26:27]
	v_mul_f64 v[183:184], v[177:178], s[14:15]
	;; [unrolled: 1-line block ×5, first 2 shown]
	v_add_f64 v[0:1], v[150:151], v[154:155]
	v_mul_f64 v[8:9], v[4:5], s[8:9]
	v_fma_f64 v[191:192], v[189:190], s[24:25], -v[179:180]
	v_fma_f64 v[179:180], v[189:190], s[24:25], v[179:180]
	v_fma_f64 v[193:194], v[189:190], s[20:21], -v[183:184]
	v_fma_f64 v[183:184], v[189:190], s[20:21], v[183:184]
	;; [unrolled: 2-line block ×5, first 2 shown]
	v_add_f64 v[189:190], v[161:162], -v[122:123]
	v_add_f64 v[161:162], v[173:174], v[161:162]
	v_mul_f64 v[124:125], v[4:5], s[36:37]
	v_fma_f64 v[10:11], v[6:7], s[12:13], -v[8:9]
	v_add_f64 v[179:180], v[173:174], v[179:180]
	v_add_f64 v[199:200], v[173:174], v[199:200]
	v_mul_f64 v[201:202], v[189:190], s[26:27]
	v_mul_f64 v[203:204], v[189:190], s[14:15]
	;; [unrolled: 1-line block ×5, first 2 shown]
	v_fma_f64 v[211:212], v[209:210], s[24:25], -v[201:202]
	v_fma_f64 v[213:214], v[209:210], s[20:21], v[203:204]
	v_fma_f64 v[215:216], v[209:210], s[22:23], v[205:206]
	;; [unrolled: 1-line block ×4, first 2 shown]
	v_fma_f64 v[189:190], v[209:210], s[12:13], -v[189:190]
	v_fma_f64 v[203:204], v[209:210], s[20:21], -v[203:204]
	;; [unrolled: 1-line block ×3, first 2 shown]
	v_fma_f64 v[217:218], v[209:210], s[18:19], v[207:208]
	v_fma_f64 v[207:208], v[209:210], s[18:19], -v[207:208]
	v_add_f64 v[209:210], v[173:174], v[191:192]
	v_add_f64 v[191:192], v[173:174], v[193:194]
	;; [unrolled: 1-line block ×9, first 2 shown]
	v_add_f64 v[189:190], v[132:133], -v[126:127]
	v_add_f64 v[211:212], v[175:176], v[201:202]
	v_add_f64 v[223:224], v[175:176], v[203:204]
	;; [unrolled: 1-line block ×9, first 2 shown]
	v_fma_f64 v[175:176], v[231:232], s[20:21], -v[233:234]
	v_fma_f64 v[177:178], v[237:238], s[22:23], v[239:240]
	v_add_f64 v[14:15], v[14:15], v[193:194]
	v_mul_f64 v[193:194], v[229:230], s[34:35]
	v_add_f64 v[30:31], v[30:31], v[195:196]
	v_mul_f64 v[195:196], v[235:236], s[10:11]
	v_mul_f64 v[227:228], v[189:190], s[14:15]
	v_add_f64 v[82:83], v[82:83], v[197:198]
	v_mul_f64 v[197:198], v[235:236], s[26:27]
	v_add_f64 v[175:176], v[175:176], v[181:182]
	v_add_f64 v[14:15], v[22:23], v[14:15]
	v_mul_f64 v[22:23], v[247:248], s[30:31]
	v_add_f64 v[30:31], v[38:39], v[30:31]
	v_mul_f64 v[38:39], v[247:248], s[26:27]
	v_fma_f64 v[173:174], v[225:226], s[20:21], v[227:228]
	v_add_f64 v[46:47], v[46:47], v[82:83]
	v_mul_f64 v[82:83], v[247:248], s[8:9]
	v_add_f64 v[14:15], v[26:27], v[14:15]
	v_mul_f64 v[26:27], v[170:171], s[34:35]
	;; [unrolled: 2-line block ×3, first 2 shown]
	v_add_f64 v[173:174], v[173:174], v[179:180]
	v_add_f64 v[46:47], v[50:51], v[46:47]
	v_mul_f64 v[50:51], v[170:171], s[36:37]
	v_mul_f64 v[170:171], v[170:171], s[16:17]
	s_delay_alu instid0(VALU_DEP_4) | instskip(SKIP_1) | instid1(VALU_DEP_1)
	v_add_f64 v[173:174], v[177:178], v[173:174]
	v_fma_f64 v[177:178], v[243:244], s[22:23], -v[245:246]
	v_add_f64 v[175:176], v[177:178], v[175:176]
	v_fma_f64 v[177:178], v[249:250], s[18:19], v[251:252]
	s_delay_alu instid0(VALU_DEP_1) | instskip(SKIP_1) | instid1(VALU_DEP_1)
	v_add_f64 v[173:174], v[177:178], v[173:174]
	v_fma_f64 v[177:178], v[168:169], s[18:19], -v[158:159]
	v_add_f64 v[175:176], v[177:178], v[175:176]
	v_fma_f64 v[177:178], v[0:1], s[12:13], v[2:3]
	s_delay_alu instid0(VALU_DEP_2) | instskip(SKIP_1) | instid1(VALU_DEP_3)
	v_add_f64 v[175:176], v[10:11], v[175:176]
	v_mul_f64 v[10:11], v[189:190], s[10:11]
	v_add_f64 v[173:174], v[177:178], v[173:174]
	s_delay_alu instid0(VALU_DEP_2) | instskip(NEXT) | instid1(VALU_DEP_1)
	v_fma_f64 v[177:178], v[225:226], s[18:19], -v[10:11]
	v_add_f64 v[177:178], v[177:178], v[191:192]
	v_fma_f64 v[191:192], v[231:232], s[24:25], v[193:194]
	v_fma_f64 v[193:194], v[231:232], s[24:25], -v[193:194]
	s_delay_alu instid0(VALU_DEP_3) | instskip(SKIP_1) | instid1(VALU_DEP_4)
	v_add_f64 v[18:19], v[18:19], v[177:178]
	v_fma_f64 v[177:178], v[249:250], s[22:23], -v[22:23]
	v_add_f64 v[191:192], v[191:192], v[215:216]
	s_delay_alu instid0(VALU_DEP_4) | instskip(NEXT) | instid1(VALU_DEP_3)
	v_add_f64 v[193:194], v[193:194], v[219:220]
	v_add_f64 v[18:19], v[177:178], v[18:19]
	v_fma_f64 v[177:178], v[0:1], s[24:25], -v[26:27]
	s_delay_alu instid0(VALU_DEP_1) | instskip(SKIP_1) | instid1(VALU_DEP_1)
	v_add_f64 v[177:178], v[177:178], v[18:19]
	v_mul_f64 v[18:19], v[4:5], s[34:35]
	v_fma_f64 v[179:180], v[6:7], s[24:25], v[18:19]
	s_delay_alu instid0(VALU_DEP_1) | instskip(SKIP_1) | instid1(VALU_DEP_1)
	v_add_f64 v[179:180], v[179:180], v[14:15]
	v_mul_f64 v[14:15], v[189:190], s[28:29]
	v_fma_f64 v[181:182], v[225:226], s[12:13], -v[14:15]
	s_delay_alu instid0(VALU_DEP_1) | instskip(NEXT) | instid1(VALU_DEP_1)
	v_add_f64 v[181:182], v[181:182], v[183:184]
	v_add_f64 v[34:35], v[34:35], v[181:182]
	v_fma_f64 v[181:182], v[249:250], s[24:25], -v[38:39]
	s_delay_alu instid0(VALU_DEP_1) | instskip(SKIP_1) | instid1(VALU_DEP_1)
	v_add_f64 v[34:35], v[181:182], v[34:35]
	v_fma_f64 v[181:182], v[0:1], s[18:19], -v[42:43]
	v_add_f64 v[181:182], v[181:182], v[34:35]
	v_mul_f64 v[34:35], v[4:5], s[10:11]
	v_mul_f64 v[4:5], v[4:5], s[16:17]
	s_delay_alu instid0(VALU_DEP_2) | instskip(NEXT) | instid1(VALU_DEP_1)
	v_fma_f64 v[183:184], v[6:7], s[18:19], v[34:35]
	v_add_f64 v[183:184], v[183:184], v[30:31]
	v_mul_f64 v[30:31], v[189:190], s[30:31]
	s_delay_alu instid0(VALU_DEP_1) | instskip(NEXT) | instid1(VALU_DEP_1)
	v_fma_f64 v[187:188], v[225:226], s[22:23], -v[30:31]
	v_add_f64 v[185:186], v[187:188], v[185:186]
	v_fma_f64 v[187:188], v[237:238], s[24:25], -v[197:198]
	s_delay_alu instid0(VALU_DEP_1) | instskip(SKIP_1) | instid1(VALU_DEP_1)
	v_add_f64 v[185:186], v[187:188], v[185:186]
	v_fma_f64 v[187:188], v[249:250], s[12:13], -v[82:83]
	v_add_f64 v[185:186], v[187:188], v[185:186]
	v_fma_f64 v[187:188], v[0:1], s[20:21], -v[50:51]
	s_delay_alu instid0(VALU_DEP_1) | instskip(SKIP_1) | instid1(VALU_DEP_1)
	v_add_f64 v[185:186], v[187:188], v[185:186]
	v_fma_f64 v[187:188], v[6:7], s[20:21], v[124:125]
	v_add_f64 v[187:188], v[187:188], v[46:47]
	v_mul_f64 v[46:47], v[189:190], s[34:35]
	s_delay_alu instid0(VALU_DEP_1) | instskip(SKIP_1) | instid1(VALU_DEP_2)
	v_fma_f64 v[189:190], v[225:226], s[24:25], -v[46:47]
	v_fma_f64 v[46:47], v[225:226], s[24:25], v[46:47]
	v_add_f64 v[189:190], v[189:190], v[199:200]
	v_fma_f64 v[199:200], v[237:238], s[18:19], -v[195:196]
	s_delay_alu instid0(VALU_DEP_3) | instskip(SKIP_1) | instid1(VALU_DEP_3)
	v_add_f64 v[46:47], v[46:47], v[217:218]
	v_fma_f64 v[195:196], v[237:238], s[18:19], v[195:196]
	v_add_f64 v[189:190], v[199:200], v[189:190]
	v_mul_f64 v[199:200], v[241:242], s[10:11]
	s_delay_alu instid0(VALU_DEP_3) | instskip(NEXT) | instid1(VALU_DEP_2)
	v_add_f64 v[46:47], v[195:196], v[46:47]
	v_fma_f64 v[215:216], v[243:244], s[18:19], v[199:200]
	v_fma_f64 v[195:196], v[243:244], s[18:19], -v[199:200]
	s_delay_alu instid0(VALU_DEP_2) | instskip(SKIP_1) | instid1(VALU_DEP_3)
	v_add_f64 v[191:192], v[215:216], v[191:192]
	v_mul_f64 v[215:216], v[247:248], s[36:37]
	v_add_f64 v[193:194], v[195:196], v[193:194]
	s_delay_alu instid0(VALU_DEP_2) | instskip(SKIP_1) | instid1(VALU_DEP_2)
	v_fma_f64 v[229:230], v[249:250], s[20:21], -v[215:216]
	v_fma_f64 v[195:196], v[249:250], s[20:21], v[215:216]
	v_add_f64 v[189:190], v[229:230], v[189:190]
	v_mul_f64 v[229:230], v[253:254], s[36:37]
	s_delay_alu instid0(VALU_DEP_3) | instskip(NEXT) | instid1(VALU_DEP_2)
	v_add_f64 v[46:47], v[195:196], v[46:47]
	v_fma_f64 v[235:236], v[168:169], s[20:21], v[229:230]
	v_fma_f64 v[195:196], v[168:169], s[20:21], -v[229:230]
	s_delay_alu instid0(VALU_DEP_2) | instskip(SKIP_1) | instid1(VALU_DEP_3)
	v_add_f64 v[191:192], v[235:236], v[191:192]
	v_fma_f64 v[235:236], v[0:1], s[22:23], -v[170:171]
	v_add_f64 v[195:196], v[195:196], v[193:194]
	v_fma_f64 v[170:171], v[0:1], s[22:23], v[170:171]
	s_delay_alu instid0(VALU_DEP_3) | instskip(SKIP_2) | instid1(VALU_DEP_4)
	v_add_f64 v[189:190], v[235:236], v[189:190]
	v_fma_f64 v[235:236], v[6:7], s[22:23], v[4:5]
	v_fma_f64 v[4:5], v[6:7], s[22:23], -v[4:5]
	v_add_f64 v[193:194], v[170:171], v[46:47]
	v_fma_f64 v[46:47], v[237:238], s[24:25], v[197:198]
	s_delay_alu instid0(VALU_DEP_4) | instskip(NEXT) | instid1(VALU_DEP_4)
	v_add_f64 v[191:192], v[235:236], v[191:192]
	v_add_f64 v[195:196], v[4:5], v[195:196]
	v_fma_f64 v[4:5], v[225:226], s[22:23], v[30:31]
	v_fma_f64 v[30:31], v[231:232], s[22:23], -v[80:81]
	s_delay_alu instid0(VALU_DEP_2) | instskip(NEXT) | instid1(VALU_DEP_2)
	v_add_f64 v[4:5], v[4:5], v[205:206]
	v_add_f64 v[30:31], v[30:31], v[207:208]
	s_delay_alu instid0(VALU_DEP_2) | instskip(NEXT) | instid1(VALU_DEP_2)
	v_add_f64 v[4:5], v[46:47], v[4:5]
	v_add_f64 v[30:31], v[44:45], v[30:31]
	v_fma_f64 v[44:45], v[249:250], s[12:13], v[82:83]
	v_fma_f64 v[46:47], v[6:7], s[20:21], -v[124:125]
	s_delay_alu instid0(VALU_DEP_2) | instskip(SKIP_1) | instid1(VALU_DEP_1)
	v_add_f64 v[4:5], v[44:45], v[4:5]
	v_fma_f64 v[44:45], v[168:169], s[12:13], -v[48:49]
	v_add_f64 v[30:31], v[44:45], v[30:31]
	v_fma_f64 v[44:45], v[0:1], s[20:21], v[50:51]
	s_delay_alu instid0(VALU_DEP_2) | instskip(NEXT) | instid1(VALU_DEP_2)
	v_add_f64 v[199:200], v[46:47], v[30:31]
	v_add_f64 v[197:198], v[44:45], v[4:5]
	v_fma_f64 v[4:5], v[225:226], s[12:13], v[14:15]
	v_fma_f64 v[14:15], v[231:232], s[12:13], -v[28:29]
	v_fma_f64 v[28:29], v[237:238], s[20:21], v[32:33]
	v_fma_f64 v[30:31], v[6:7], s[18:19], -v[34:35]
	s_delay_alu instid0(VALU_DEP_4) | instskip(NEXT) | instid1(VALU_DEP_4)
	v_add_f64 v[4:5], v[4:5], v[201:202]
	v_add_f64 v[14:15], v[14:15], v[203:204]
	s_delay_alu instid0(VALU_DEP_2) | instskip(SKIP_1) | instid1(VALU_DEP_1)
	v_add_f64 v[4:5], v[28:29], v[4:5]
	v_fma_f64 v[28:29], v[243:244], s[20:21], -v[36:37]
	v_add_f64 v[14:15], v[28:29], v[14:15]
	v_fma_f64 v[28:29], v[249:250], s[24:25], v[38:39]
	s_delay_alu instid0(VALU_DEP_1) | instskip(SKIP_1) | instid1(VALU_DEP_1)
	v_add_f64 v[4:5], v[28:29], v[4:5]
	v_fma_f64 v[28:29], v[168:169], s[24:25], -v[40:41]
	v_add_f64 v[14:15], v[28:29], v[14:15]
	v_fma_f64 v[28:29], v[0:1], s[18:19], v[42:43]
	s_delay_alu instid0(VALU_DEP_2) | instskip(NEXT) | instid1(VALU_DEP_2)
	v_add_f64 v[203:204], v[30:31], v[14:15]
	v_add_f64 v[201:202], v[28:29], v[4:5]
	v_fma_f64 v[4:5], v[225:226], s[18:19], v[10:11]
	v_fma_f64 v[10:11], v[231:232], s[18:19], -v[12:13]
	v_fma_f64 v[12:13], v[237:238], s[12:13], v[16:17]
	v_fma_f64 v[14:15], v[6:7], s[24:25], -v[18:19]
	v_fma_f64 v[16:17], v[249:250], s[18:19], -v[251:252]
	v_fma_f64 v[18:19], v[168:169], s[18:19], v[158:159]
	v_add_f64 v[4:5], v[4:5], v[213:214]
	v_add_f64 v[10:11], v[10:11], v[223:224]
	s_delay_alu instid0(VALU_DEP_2) | instskip(SKIP_1) | instid1(VALU_DEP_1)
	v_add_f64 v[4:5], v[12:13], v[4:5]
	v_fma_f64 v[12:13], v[243:244], s[12:13], -v[20:21]
	v_add_f64 v[10:11], v[12:13], v[10:11]
	v_fma_f64 v[12:13], v[249:250], s[22:23], v[22:23]
	s_delay_alu instid0(VALU_DEP_1) | instskip(SKIP_1) | instid1(VALU_DEP_1)
	v_add_f64 v[4:5], v[12:13], v[4:5]
	v_fma_f64 v[12:13], v[168:169], s[22:23], -v[24:25]
	v_add_f64 v[10:11], v[12:13], v[10:11]
	v_fma_f64 v[12:13], v[0:1], s[24:25], v[26:27]
	v_fma_f64 v[0:1], v[0:1], s[12:13], -v[2:3]
	v_fma_f64 v[2:3], v[6:7], s[12:13], v[8:9]
	s_delay_alu instid0(VALU_DEP_4) | instskip(NEXT) | instid1(VALU_DEP_4)
	v_add_f64 v[207:208], v[14:15], v[10:11]
	v_add_f64 v[205:206], v[12:13], v[4:5]
	v_fma_f64 v[4:5], v[225:226], s[20:21], -v[227:228]
	v_fma_f64 v[10:11], v[231:232], s[20:21], v[233:234]
	v_fma_f64 v[12:13], v[237:238], s[22:23], -v[239:240]
	v_fma_f64 v[14:15], v[243:244], s[22:23], v[245:246]
	s_delay_alu instid0(VALU_DEP_4) | instskip(NEXT) | instid1(VALU_DEP_4)
	v_add_f64 v[4:5], v[4:5], v[209:210]
	v_add_f64 v[10:11], v[10:11], v[211:212]
	s_delay_alu instid0(VALU_DEP_2) | instskip(NEXT) | instid1(VALU_DEP_2)
	v_add_f64 v[4:5], v[12:13], v[4:5]
	v_add_f64 v[10:11], v[14:15], v[10:11]
	s_delay_alu instid0(VALU_DEP_2) | instskip(NEXT) | instid1(VALU_DEP_2)
	;; [unrolled: 3-line block ×3, first 2 shown]
	v_add_f64 v[209:210], v[0:1], v[4:5]
	v_add_f64 v[211:212], v[2:3], v[6:7]
	;; [unrolled: 1-line block ×4, first 2 shown]
	s_delay_alu instid0(VALU_DEP_2) | instskip(NEXT) | instid1(VALU_DEP_2)
	v_add_f64 v[0:1], v[0:1], v[138:139]
	v_add_f64 v[2:3], v[2:3], v[140:141]
	s_delay_alu instid0(VALU_DEP_2) | instskip(NEXT) | instid1(VALU_DEP_2)
	v_add_f64 v[0:1], v[0:1], v[144:145]
	v_add_f64 v[2:3], v[2:3], v[146:147]
	;; [unrolled: 3-line block ×8, first 2 shown]
	ds_store_b128 v166, v[177:180] offset:1056
	ds_store_b128 v166, v[181:184] offset:1584
	;; [unrolled: 1-line block ×10, first 2 shown]
	ds_store_b128 v166, v[126:129]
	scratch_load_b32 v6, off, off offset:200 ; 4-byte Folded Reload
	s_waitcnt vmcnt(0) lgkmcnt(0)
	s_barrier
	buffer_gl0_inv
	scratch_load_b64 v[2:3], off, off offset:212 ; 8-byte Folded Reload
	v_add_co_u32 v0, s0, 0x16b0, v255
	s_delay_alu instid0(VALU_DEP_1)
	v_add_co_ci_u32_e64 v1, s0, 0, v6, s0
	s_waitcnt vmcnt(0)
	s_clause 0x1
	global_load_b128 v[120:123], v[2:3], off offset:1712
	global_load_b128 v[124:127], v[0:1], off offset:528
	ds_load_b128 v[128:131], v166
	ds_load_b128 v[132:135], v166 offset:528
	s_waitcnt vmcnt(1) lgkmcnt(1)
	v_mul_f64 v[2:3], v[130:131], v[122:123]
	v_mul_f64 v[4:5], v[128:129], v[122:123]
	s_delay_alu instid0(VALU_DEP_2) | instskip(NEXT) | instid1(VALU_DEP_2)
	v_fma_f64 v[128:129], v[128:129], v[120:121], -v[2:3]
	v_fma_f64 v[130:131], v[130:131], v[120:121], v[4:5]
	s_waitcnt vmcnt(0) lgkmcnt(0)
	v_mul_f64 v[2:3], v[134:135], v[126:127]
	v_mul_f64 v[4:5], v[132:133], v[126:127]
	s_delay_alu instid0(VALU_DEP_2) | instskip(NEXT) | instid1(VALU_DEP_2)
	v_fma_f64 v[120:121], v[132:133], v[124:125], -v[2:3]
	v_fma_f64 v[122:123], v[134:135], v[124:125], v[4:5]
	s_clause 0x1
	global_load_b128 v[124:127], v[0:1], off offset:1056
	global_load_b128 v[132:135], v[0:1], off offset:1584
	ds_load_b128 v[136:139], v166 offset:1056
	ds_load_b128 v[140:143], v166 offset:1584
	s_waitcnt vmcnt(1) lgkmcnt(1)
	v_mul_f64 v[2:3], v[138:139], v[126:127]
	v_mul_f64 v[4:5], v[136:137], v[126:127]
	s_delay_alu instid0(VALU_DEP_2) | instskip(NEXT) | instid1(VALU_DEP_2)
	v_fma_f64 v[136:137], v[136:137], v[124:125], -v[2:3]
	v_fma_f64 v[138:139], v[138:139], v[124:125], v[4:5]
	s_waitcnt vmcnt(0) lgkmcnt(0)
	v_mul_f64 v[2:3], v[142:143], v[134:135]
	v_mul_f64 v[4:5], v[140:141], v[134:135]
	s_delay_alu instid0(VALU_DEP_2) | instskip(NEXT) | instid1(VALU_DEP_2)
	v_fma_f64 v[124:125], v[140:141], v[132:133], -v[2:3]
	v_fma_f64 v[126:127], v[142:143], v[132:133], v[4:5]
	s_clause 0x1
	global_load_b128 v[132:135], v[0:1], off offset:2112
	global_load_b128 v[140:143], v[0:1], off offset:2640
	ds_load_b128 v[144:147], v166 offset:2112
	;; [unrolled: 17-line block ×3, first 2 shown]
	ds_load_b128 v[173:176], v166 offset:3696
	s_waitcnt vmcnt(1) lgkmcnt(1)
	v_mul_f64 v[0:1], v[154:155], v[142:143]
	v_mul_f64 v[2:3], v[152:153], v[142:143]
	s_delay_alu instid0(VALU_DEP_2) | instskip(SKIP_2) | instid1(VALU_DEP_3)
	v_fma_f64 v[152:153], v[152:153], v[140:141], -v[0:1]
	s_waitcnt vmcnt(0) lgkmcnt(0)
	v_mul_f64 v[0:1], v[175:176], v[150:151]
	v_fma_f64 v[154:155], v[154:155], v[140:141], v[2:3]
	v_mul_f64 v[2:3], v[173:174], v[150:151]
	s_delay_alu instid0(VALU_DEP_3) | instskip(SKIP_1) | instid1(VALU_DEP_1)
	v_fma_f64 v[140:141], v[173:174], v[148:149], -v[0:1]
	v_add_co_u32 v0, s0, 0x2000, v255
	v_add_co_ci_u32_e64 v1, s0, 0, v6, s0
	s_delay_alu instid0(VALU_DEP_4)
	v_fma_f64 v[142:143], v[175:176], v[148:149], v[2:3]
	s_clause 0x1
	global_load_b128 v[148:151], v[0:1], off offset:1840
	global_load_b128 v[156:159], v[0:1], off offset:2368
	ds_load_b128 v[173:176], v166 offset:4224
	ds_load_b128 v[177:180], v166 offset:4752
	s_mov_b32 s0, s10
	s_waitcnt vmcnt(1) lgkmcnt(1)
	v_mul_f64 v[2:3], v[175:176], v[150:151]
	v_mul_f64 v[4:5], v[173:174], v[150:151]
	s_delay_alu instid0(VALU_DEP_2) | instskip(NEXT) | instid1(VALU_DEP_2)
	v_fma_f64 v[173:174], v[173:174], v[148:149], -v[2:3]
	v_fma_f64 v[175:176], v[175:176], v[148:149], v[4:5]
	s_waitcnt vmcnt(0) lgkmcnt(0)
	v_mul_f64 v[2:3], v[179:180], v[158:159]
	v_mul_f64 v[4:5], v[177:178], v[158:159]
	s_delay_alu instid0(VALU_DEP_2) | instskip(NEXT) | instid1(VALU_DEP_2)
	v_fma_f64 v[148:149], v[177:178], v[156:157], -v[2:3]
	v_fma_f64 v[150:151], v[179:180], v[156:157], v[4:5]
	global_load_b128 v[156:159], v[0:1], off offset:2896
	ds_load_b128 v[177:180], v166 offset:5280
	s_waitcnt vmcnt(0) lgkmcnt(0)
	v_mul_f64 v[0:1], v[179:180], v[158:159]
	v_mul_f64 v[2:3], v[177:178], v[158:159]
	s_delay_alu instid0(VALU_DEP_2) | instskip(NEXT) | instid1(VALU_DEP_2)
	v_fma_f64 v[177:178], v[177:178], v[156:157], -v[0:1]
	v_fma_f64 v[179:180], v[179:180], v[156:157], v[2:3]
	ds_store_b128 v166, v[128:131]
	ds_store_b128 v166, v[120:123] offset:528
	ds_store_b128 v166, v[136:139] offset:1056
	;; [unrolled: 1-line block ×10, first 2 shown]
	s_waitcnt lgkmcnt(0)
	s_barrier
	buffer_gl0_inv
	ds_load_b128 v[120:123], v166
	ds_load_b128 v[124:127], v166 offset:528
	ds_load_b128 v[128:131], v166 offset:1056
	;; [unrolled: 1-line block ×7, first 2 shown]
	s_waitcnt lgkmcnt(6)
	v_add_f64 v[0:1], v[120:121], v[124:125]
	v_add_f64 v[2:3], v[122:123], v[126:127]
	s_waitcnt lgkmcnt(1)
	v_add_f64 v[4:5], v[140:141], v[144:145]
	v_add_f64 v[6:7], v[142:143], v[146:147]
	v_add_f64 v[8:9], v[140:141], -v[144:145]
	v_add_f64 v[10:11], v[142:143], -v[146:147]
	s_waitcnt lgkmcnt(0)
	v_add_f64 v[12:13], v[136:137], v[148:149]
	v_add_f64 v[14:15], v[138:139], v[150:151]
	v_add_f64 v[16:17], v[138:139], -v[150:151]
	v_add_f64 v[18:19], v[136:137], -v[148:149]
	v_add_f64 v[0:1], v[0:1], v[128:129]
	v_add_f64 v[2:3], v[2:3], v[130:131]
	v_mul_f64 v[175:176], v[10:11], s[34:35]
	v_mul_f64 v[187:188], v[10:11], s[10:11]
	;; [unrolled: 1-line block ×15, first 2 shown]
	v_add_f64 v[0:1], v[0:1], v[132:133]
	v_add_f64 v[2:3], v[2:3], v[134:135]
	s_delay_alu instid0(VALU_DEP_2) | instskip(NEXT) | instid1(VALU_DEP_2)
	v_add_f64 v[0:1], v[0:1], v[136:137]
	v_add_f64 v[2:3], v[2:3], v[138:139]
	s_delay_alu instid0(VALU_DEP_2) | instskip(NEXT) | instid1(VALU_DEP_2)
	v_add_f64 v[0:1], v[0:1], v[140:141]
	v_add_f64 v[2:3], v[2:3], v[142:143]
	ds_load_b128 v[136:139], v166 offset:4224
	ds_load_b128 v[140:143], v166 offset:4752
	s_waitcnt lgkmcnt(1)
	v_add_f64 v[20:21], v[134:135], -v[138:139]
	s_waitcnt lgkmcnt(0)
	v_add_f64 v[28:29], v[130:131], -v[142:143]
	v_add_f64 v[30:31], v[130:131], v[142:143]
	v_add_f64 v[32:33], v[128:129], v[140:141]
	v_add_f64 v[34:35], v[128:129], -v[140:141]
	ds_load_b128 v[128:131], v166 offset:5280
	v_add_f64 v[22:23], v[134:135], v[138:139]
	v_add_f64 v[24:25], v[132:133], v[136:137]
	v_add_f64 v[26:27], v[132:133], -v[136:137]
	s_waitcnt lgkmcnt(0)
	s_barrier
	buffer_gl0_inv
	v_add_f64 v[0:1], v[0:1], v[144:145]
	v_add_f64 v[2:3], v[2:3], v[146:147]
	v_add_f64 v[36:37], v[126:127], -v[130:131]
	v_add_f64 v[38:39], v[126:127], v[130:131]
	v_add_f64 v[40:41], v[124:125], v[128:129]
	v_add_f64 v[42:43], v[124:125], -v[128:129]
	v_mul_f64 v[161:162], v[20:21], s[28:29]
	v_mul_f64 v[158:159], v[28:29], s[28:29]
	;; [unrolled: 1-line block ×14, first 2 shown]
	v_add_f64 v[0:1], v[0:1], v[148:149]
	v_add_f64 v[2:3], v[2:3], v[150:151]
	v_mul_f64 v[148:149], v[28:29], s[34:35]
	v_mul_f64 v[150:151], v[30:31], s[24:25]
	;; [unrolled: 1-line block ×7, first 2 shown]
	v_add_f64 v[0:1], v[0:1], v[136:137]
	v_add_f64 v[2:3], v[2:3], v[138:139]
	v_fma_f64 v[80:81], v[40:41], s[22:23], v[44:45]
	v_fma_f64 v[44:45], v[40:41], s[22:23], -v[44:45]
	v_fma_f64 v[82:83], v[40:41], s[18:19], v[46:47]
	v_fma_f64 v[46:47], v[40:41], s[18:19], -v[46:47]
	v_fma_f64 v[138:139], v[42:43], s[36:37], v[126:127]
	v_fma_f64 v[126:127], v[42:43], s[14:15], v[126:127]
	v_add_f64 v[0:1], v[0:1], v[140:141]
	v_add_f64 v[2:3], v[2:3], v[142:143]
	v_fma_f64 v[140:141], v[42:43], s[30:31], v[132:133]
	v_fma_f64 v[132:133], v[42:43], s[16:17], v[132:133]
	;; [unrolled: 1-line block ×4, first 2 shown]
	v_add_f64 v[80:81], v[120:121], v[80:81]
	v_add_f64 v[44:45], v[120:121], v[44:45]
	v_add_f64 v[82:83], v[120:121], v[82:83]
	v_add_f64 v[46:47], v[120:121], v[46:47]
	v_add_f64 v[126:127], v[122:123], v[126:127]
	v_add_f64 v[128:129], v[0:1], v[128:129]
	v_add_f64 v[130:131], v[2:3], v[130:131]
	v_mul_f64 v[0:1], v[36:37], s[26:27]
	v_mul_f64 v[2:3], v[36:37], s[14:15]
	v_mul_f64 v[36:37], v[36:37], s[8:9]
	v_add_f64 v[156:157], v[122:123], v[132:133]
	v_add_f64 v[152:153], v[122:123], v[134:135]
	v_fma_f64 v[134:135], v[24:25], s[12:13], v[161:162]
	v_fma_f64 v[48:49], v[40:41], s[24:25], v[0:1]
	v_fma_f64 v[0:1], v[40:41], s[24:25], -v[0:1]
	v_fma_f64 v[50:51], v[40:41], s[20:21], v[2:3]
	v_fma_f64 v[2:3], v[40:41], s[20:21], -v[2:3]
	;; [unrolled: 2-line block ×3, first 2 shown]
	v_mul_f64 v[40:41], v[38:39], s[24:25]
	v_mul_f64 v[38:39], v[38:39], s[12:13]
	v_add_f64 v[0:1], v[120:121], v[0:1]
	v_add_f64 v[50:51], v[120:121], v[50:51]
	;; [unrolled: 1-line block ×5, first 2 shown]
	v_fma_f64 v[136:137], v[42:43], s[26:27], v[40:41]
	v_fma_f64 v[40:41], v[42:43], s[34:35], v[40:41]
	;; [unrolled: 1-line block ×4, first 2 shown]
	v_add_f64 v[42:43], v[120:121], v[48:49]
	v_mul_f64 v[120:121], v[28:29], s[10:11]
	v_add_f64 v[48:49], v[122:123], v[136:137]
	v_add_f64 v[40:41], v[122:123], v[40:41]
	;; [unrolled: 1-line block ×7, first 2 shown]
	v_fma_f64 v[122:123], v[32:33], s[18:19], v[120:121]
	s_delay_alu instid0(VALU_DEP_1) | instskip(SKIP_2) | instid1(VALU_DEP_3)
	v_add_f64 v[50:51], v[122:123], v[50:51]
	v_mul_f64 v[122:123], v[30:31], s[18:19]
	v_mul_f64 v[30:31], v[30:31], s[20:21]
	v_add_f64 v[50:51], v[134:135], v[50:51]
	s_delay_alu instid0(VALU_DEP_3) | instskip(SKIP_1) | instid1(VALU_DEP_2)
	v_fma_f64 v[132:133], v[34:35], s[0:1], v[122:123]
	v_fma_f64 v[134:135], v[26:27], s[8:9], v[168:169]
	v_add_f64 v[132:133], v[132:133], v[136:137]
	s_delay_alu instid0(VALU_DEP_1) | instskip(SKIP_1) | instid1(VALU_DEP_1)
	v_add_f64 v[132:133], v[134:135], v[132:133]
	v_fma_f64 v[134:135], v[12:13], s[22:23], v[170:171]
	v_add_f64 v[50:51], v[134:135], v[50:51]
	v_fma_f64 v[134:135], v[18:19], s[16:17], v[173:174]
	s_delay_alu instid0(VALU_DEP_1) | instskip(SKIP_1) | instid1(VALU_DEP_1)
	v_add_f64 v[134:135], v[134:135], v[132:133]
	v_fma_f64 v[132:133], v[4:5], s[24:25], v[175:176]
	v_add_f64 v[132:133], v[132:133], v[50:51]
	v_mul_f64 v[50:51], v[6:7], s[24:25]
	s_delay_alu instid0(VALU_DEP_1) | instskip(NEXT) | instid1(VALU_DEP_1)
	v_fma_f64 v[136:137], v[8:9], s[26:27], v[50:51]
	v_add_f64 v[134:135], v[136:137], v[134:135]
	v_fma_f64 v[136:137], v[32:33], s[12:13], v[158:159]
	s_delay_alu instid0(VALU_DEP_1) | instskip(SKIP_1) | instid1(VALU_DEP_1)
	v_add_f64 v[80:81], v[136:137], v[80:81]
	v_fma_f64 v[136:137], v[34:35], s[8:9], v[177:178]
	v_add_f64 v[136:137], v[136:137], v[138:139]
	v_fma_f64 v[138:139], v[24:25], s[20:21], v[179:180]
	s_delay_alu instid0(VALU_DEP_1) | instskip(SKIP_1) | instid1(VALU_DEP_1)
	v_add_f64 v[80:81], v[138:139], v[80:81]
	;; [unrolled: 5-line block ×4, first 2 shown]
	v_mul_f64 v[80:81], v[6:7], s[18:19]
	v_fma_f64 v[142:143], v[8:9], s[0:1], v[80:81]
	s_delay_alu instid0(VALU_DEP_1) | instskip(SKIP_1) | instid1(VALU_DEP_1)
	v_add_f64 v[138:139], v[142:143], v[138:139]
	v_fma_f64 v[142:143], v[32:33], s[22:23], v[154:155]
	v_add_f64 v[82:83], v[142:143], v[82:83]
	v_fma_f64 v[142:143], v[34:35], s[16:17], v[189:190]
	s_delay_alu instid0(VALU_DEP_1) | instskip(SKIP_1) | instid1(VALU_DEP_1)
	v_add_f64 v[140:141], v[142:143], v[140:141]
	v_fma_f64 v[142:143], v[24:25], s[24:25], v[191:192]
	v_add_f64 v[82:83], v[142:143], v[82:83]
	;; [unrolled: 5-line block ×4, first 2 shown]
	v_mul_f64 v[82:83], v[6:7], s[20:21]
	s_delay_alu instid0(VALU_DEP_1) | instskip(SKIP_1) | instid1(VALU_DEP_2)
	v_fma_f64 v[146:147], v[8:9], s[14:15], v[82:83]
	v_fma_f64 v[82:83], v[8:9], s[36:37], v[82:83]
	v_add_f64 v[142:143], v[146:147], v[142:143]
	v_fma_f64 v[146:147], v[32:33], s[24:25], v[148:149]
	v_fma_f64 v[148:149], v[32:33], s[24:25], -v[148:149]
	s_delay_alu instid0(VALU_DEP_2) | instskip(SKIP_1) | instid1(VALU_DEP_3)
	v_add_f64 v[124:125], v[146:147], v[124:125]
	v_fma_f64 v[146:147], v[34:35], s[26:27], v[150:151]
	v_add_f64 v[36:37], v[148:149], v[36:37]
	v_fma_f64 v[148:149], v[34:35], s[34:35], v[150:151]
	s_delay_alu instid0(VALU_DEP_3) | instskip(SKIP_1) | instid1(VALU_DEP_3)
	v_add_f64 v[144:145], v[146:147], v[144:145]
	v_fma_f64 v[146:147], v[24:25], s[18:19], v[201:202]
	v_add_f64 v[38:39], v[148:149], v[38:39]
	v_fma_f64 v[148:149], v[24:25], s[18:19], -v[201:202]
	s_delay_alu instid0(VALU_DEP_3) | instskip(SKIP_1) | instid1(VALU_DEP_3)
	v_add_f64 v[124:125], v[146:147], v[124:125]
	v_fma_f64 v[146:147], v[26:27], s[0:1], v[203:204]
	v_add_f64 v[36:37], v[148:149], v[36:37]
	v_fma_f64 v[148:149], v[26:27], s[10:11], v[203:204]
	s_delay_alu instid0(VALU_DEP_3) | instskip(SKIP_1) | instid1(VALU_DEP_3)
	v_add_f64 v[144:145], v[146:147], v[144:145]
	v_fma_f64 v[146:147], v[12:13], s[20:21], v[205:206]
	v_add_f64 v[38:39], v[148:149], v[38:39]
	v_fma_f64 v[148:149], v[12:13], s[20:21], -v[205:206]
	s_delay_alu instid0(VALU_DEP_3) | instskip(SKIP_1) | instid1(VALU_DEP_3)
	;; [unrolled: 10-line block ×3, first 2 shown]
	v_add_f64 v[144:145], v[144:145], v[124:125]
	v_mul_f64 v[124:125], v[6:7], s[22:23]
	v_add_f64 v[148:149], v[148:149], v[36:37]
	v_fma_f64 v[36:37], v[32:33], s[22:23], -v[154:155]
	v_mul_f64 v[6:7], v[6:7], s[12:13]
	s_delay_alu instid0(VALU_DEP_4) | instskip(SKIP_1) | instid1(VALU_DEP_4)
	v_fma_f64 v[211:212], v[8:9], s[30:31], v[124:125]
	v_fma_f64 v[124:125], v[8:9], s[16:17], v[124:125]
	v_add_f64 v[36:37], v[36:37], v[46:47]
	v_fma_f64 v[46:47], v[24:25], s[24:25], -v[191:192]
	s_delay_alu instid0(VALU_DEP_4) | instskip(NEXT) | instid1(VALU_DEP_4)
	v_add_f64 v[146:147], v[211:212], v[146:147]
	v_add_f64 v[150:151], v[124:125], v[38:39]
	v_fma_f64 v[38:39], v[34:35], s[30:31], v[189:190]
	s_delay_alu instid0(VALU_DEP_4) | instskip(SKIP_1) | instid1(VALU_DEP_3)
	v_add_f64 v[36:37], v[46:47], v[36:37]
	v_fma_f64 v[46:47], v[26:27], s[26:27], v[193:194]
	v_add_f64 v[38:39], v[38:39], v[152:153]
	s_delay_alu instid0(VALU_DEP_1) | instskip(SKIP_1) | instid1(VALU_DEP_1)
	v_add_f64 v[38:39], v[46:47], v[38:39]
	v_fma_f64 v[46:47], v[12:13], s[12:13], -v[195:196]
	v_add_f64 v[36:37], v[46:47], v[36:37]
	v_fma_f64 v[46:47], v[18:19], s[8:9], v[197:198]
	s_delay_alu instid0(VALU_DEP_1) | instskip(SKIP_1) | instid1(VALU_DEP_2)
	v_add_f64 v[38:39], v[46:47], v[38:39]
	v_fma_f64 v[46:47], v[4:5], s[20:21], -v[199:200]
	v_add_f64 v[154:155], v[82:83], v[38:39]
	s_delay_alu instid0(VALU_DEP_2) | instskip(SKIP_3) | instid1(VALU_DEP_3)
	v_add_f64 v[152:153], v[46:47], v[36:37]
	v_fma_f64 v[36:37], v[32:33], s[12:13], -v[158:159]
	v_fma_f64 v[38:39], v[34:35], s[28:29], v[177:178]
	v_fma_f64 v[46:47], v[8:9], s[10:11], v[80:81]
	v_add_f64 v[36:37], v[36:37], v[44:45]
	v_fma_f64 v[44:45], v[24:25], s[20:21], -v[179:180]
	s_delay_alu instid0(VALU_DEP_4) | instskip(NEXT) | instid1(VALU_DEP_2)
	v_add_f64 v[38:39], v[38:39], v[156:157]
	v_add_f64 v[36:37], v[44:45], v[36:37]
	v_fma_f64 v[44:45], v[26:27], s[36:37], v[181:182]
	s_delay_alu instid0(VALU_DEP_1) | instskip(SKIP_1) | instid1(VALU_DEP_1)
	v_add_f64 v[38:39], v[44:45], v[38:39]
	v_fma_f64 v[44:45], v[12:13], s[24:25], -v[183:184]
	v_add_f64 v[36:37], v[44:45], v[36:37]
	v_fma_f64 v[44:45], v[18:19], s[26:27], v[185:186]
	s_delay_alu instid0(VALU_DEP_1) | instskip(SKIP_1) | instid1(VALU_DEP_2)
	v_add_f64 v[38:39], v[44:45], v[38:39]
	v_fma_f64 v[44:45], v[4:5], s[18:19], -v[187:188]
	v_add_f64 v[158:159], v[46:47], v[38:39]
	s_delay_alu instid0(VALU_DEP_2) | instskip(SKIP_3) | instid1(VALU_DEP_3)
	v_add_f64 v[156:157], v[44:45], v[36:37]
	v_fma_f64 v[36:37], v[32:33], s[18:19], -v[120:121]
	v_fma_f64 v[38:39], v[24:25], s[12:13], -v[161:162]
	v_fma_f64 v[44:45], v[8:9], s[34:35], v[50:51]
	v_add_f64 v[2:3], v[36:37], v[2:3]
	v_fma_f64 v[36:37], v[34:35], s[10:11], v[122:123]
	s_delay_alu instid0(VALU_DEP_2) | instskip(NEXT) | instid1(VALU_DEP_2)
	v_add_f64 v[2:3], v[38:39], v[2:3]
	v_add_f64 v[36:37], v[36:37], v[126:127]
	v_fma_f64 v[38:39], v[26:27], s[28:29], v[168:169]
	s_delay_alu instid0(VALU_DEP_1) | instskip(SKIP_1) | instid1(VALU_DEP_1)
	v_add_f64 v[36:37], v[38:39], v[36:37]
	v_fma_f64 v[38:39], v[12:13], s[22:23], -v[170:171]
	v_add_f64 v[2:3], v[38:39], v[2:3]
	v_fma_f64 v[38:39], v[18:19], s[30:31], v[173:174]
	s_delay_alu instid0(VALU_DEP_1) | instskip(SKIP_1) | instid1(VALU_DEP_2)
	v_add_f64 v[36:37], v[38:39], v[36:37]
	v_fma_f64 v[38:39], v[4:5], s[24:25], -v[175:176]
	v_add_f64 v[122:123], v[44:45], v[36:37]
	s_delay_alu instid0(VALU_DEP_2) | instskip(SKIP_4) | instid1(VALU_DEP_4)
	v_add_f64 v[120:121], v[38:39], v[2:3]
	v_mul_f64 v[2:3], v[28:29], s[14:15]
	v_fma_f64 v[36:37], v[34:35], s[36:37], v[30:31]
	v_fma_f64 v[38:39], v[24:25], s[22:23], v[20:21]
	v_fma_f64 v[20:21], v[24:25], s[22:23], -v[20:21]
	v_fma_f64 v[28:29], v[32:33], s[20:21], v[2:3]
	s_delay_alu instid0(VALU_DEP_4) | instskip(SKIP_1) | instid1(VALU_DEP_3)
	v_add_f64 v[36:37], v[36:37], v[40:41]
	v_fma_f64 v[2:3], v[32:33], s[20:21], -v[2:3]
	v_add_f64 v[28:29], v[28:29], v[42:43]
	s_delay_alu instid0(VALU_DEP_2) | instskip(NEXT) | instid1(VALU_DEP_2)
	v_add_f64 v[0:1], v[2:3], v[0:1]
	v_add_f64 v[28:29], v[38:39], v[28:29]
	v_fma_f64 v[38:39], v[26:27], s[30:31], v[22:23]
	v_fma_f64 v[22:23], v[26:27], s[16:17], v[22:23]
	s_delay_alu instid0(VALU_DEP_4) | instskip(NEXT) | instid1(VALU_DEP_3)
	v_add_f64 v[0:1], v[20:21], v[0:1]
	v_add_f64 v[36:37], v[38:39], v[36:37]
	v_fma_f64 v[38:39], v[12:13], s[18:19], v[16:17]
	v_fma_f64 v[12:13], v[12:13], s[18:19], -v[16:17]
	s_delay_alu instid0(VALU_DEP_2) | instskip(SKIP_2) | instid1(VALU_DEP_4)
	v_add_f64 v[28:29], v[38:39], v[28:29]
	v_fma_f64 v[38:39], v[18:19], s[0:1], v[14:15]
	v_fma_f64 v[14:15], v[18:19], s[10:11], v[14:15]
	v_add_f64 v[0:1], v[12:13], v[0:1]
	s_delay_alu instid0(VALU_DEP_3) | instskip(SKIP_2) | instid1(VALU_DEP_2)
	v_add_f64 v[36:37], v[38:39], v[36:37]
	v_fma_f64 v[38:39], v[4:5], s[12:13], v[10:11]
	v_fma_f64 v[4:5], v[4:5], s[12:13], -v[10:11]
	v_add_f64 v[173:174], v[38:39], v[28:29]
	v_fma_f64 v[28:29], v[8:9], s[28:29], v[6:7]
	v_fma_f64 v[6:7], v[8:9], s[8:9], v[6:7]
	s_delay_alu instid0(VALU_DEP_4) | instskip(NEXT) | instid1(VALU_DEP_3)
	v_add_f64 v[124:125], v[4:5], v[0:1]
	v_add_f64 v[175:176], v[28:29], v[36:37]
	v_fma_f64 v[28:29], v[34:35], s[14:15], v[30:31]
	s_delay_alu instid0(VALU_DEP_1) | instskip(NEXT) | instid1(VALU_DEP_1)
	v_add_f64 v[2:3], v[28:29], v[48:49]
	v_add_f64 v[2:3], v[22:23], v[2:3]
	s_delay_alu instid0(VALU_DEP_1) | instskip(NEXT) | instid1(VALU_DEP_1)
	v_add_f64 v[2:3], v[14:15], v[2:3]
	v_add_f64 v[126:127], v[6:7], v[2:3]
	ds_store_b128 v160, v[132:135] offset:32
	ds_store_b128 v160, v[136:139] offset:48
	;; [unrolled: 1-line block ×7, first 2 shown]
	ds_store_b128 v160, v[128:131]
	ds_store_b128 v160, v[156:159] offset:128
	ds_store_b128 v160, v[120:123] offset:144
	;; [unrolled: 1-line block ×3, first 2 shown]
	s_waitcnt lgkmcnt(0)
	s_barrier
	buffer_gl0_inv
	ds_load_b128 v[136:139], v166
	ds_load_b128 v[128:131], v166 offset:528
	ds_load_b128 v[152:155], v166 offset:3872
	;; [unrolled: 1-line block ×8, first 2 shown]
	s_and_saveexec_b32 s0, vcc_lo
	s_cbranch_execz .LBB0_7
; %bb.6:
	ds_load_b128 v[120:123], v166 offset:1584
	ds_load_b128 v[124:127], v166 offset:3520
	ds_load_b128 v[0:3], v166 offset:5456
	s_waitcnt lgkmcnt(0)
	scratch_store_b128 off, v[0:3], off offset:4 ; 16-byte Folded Spill
.LBB0_7:
	s_or_b32 exec_lo, exec_lo, s0
	s_waitcnt lgkmcnt(4)
	v_mul_f64 v[0:1], v[66:67], v[162:163]
	v_mul_f64 v[2:3], v[62:63], v[154:155]
	;; [unrolled: 1-line block ×4, first 2 shown]
	s_waitcnt lgkmcnt(2)
	v_mul_f64 v[8:9], v[74:75], v[158:159]
	v_mul_f64 v[10:11], v[70:71], v[142:143]
	;; [unrolled: 1-line block ×4, first 2 shown]
	s_waitcnt lgkmcnt(1)
	v_mul_f64 v[16:17], v[58:59], v[146:147]
	s_waitcnt lgkmcnt(0)
	v_mul_f64 v[18:19], v[54:55], v[150:151]
	v_mul_f64 v[20:21], v[58:59], v[144:145]
	;; [unrolled: 1-line block ×3, first 2 shown]
	s_mov_b32 s0, 0xe8584caa
	s_mov_b32 s1, 0xbfebb67a
	;; [unrolled: 1-line block ×4, first 2 shown]
	s_waitcnt_vscnt null, 0x0
	s_barrier
	buffer_gl0_inv
	v_fma_f64 v[0:1], v[64:65], v[160:161], v[0:1]
	v_fma_f64 v[2:3], v[60:61], v[152:153], v[2:3]
	v_fma_f64 v[4:5], v[64:65], v[162:163], -v[4:5]
	v_fma_f64 v[6:7], v[60:61], v[154:155], -v[6:7]
	v_fma_f64 v[8:9], v[72:73], v[156:157], v[8:9]
	v_fma_f64 v[10:11], v[68:69], v[140:141], v[10:11]
	v_fma_f64 v[12:13], v[72:73], v[158:159], -v[12:13]
	v_fma_f64 v[14:15], v[68:69], v[142:143], -v[14:15]
	;; [unrolled: 4-line block ×3, first 2 shown]
	v_add_f64 v[36:37], v[136:137], v[0:1]
	v_add_f64 v[24:25], v[0:1], v[2:3]
	v_add_f64 v[0:1], v[0:1], -v[2:3]
	v_add_f64 v[26:27], v[4:5], v[6:7]
	v_add_f64 v[38:39], v[4:5], -v[6:7]
	v_add_f64 v[28:29], v[8:9], v[10:11]
	v_add_f64 v[4:5], v[138:139], v[4:5]
	;; [unrolled: 1-line block ×7, first 2 shown]
	v_add_f64 v[12:13], v[12:13], -v[14:15]
	v_add_f64 v[8:9], v[8:9], -v[10:11]
	v_add_f64 v[44:45], v[132:133], v[16:17]
	v_add_f64 v[46:47], v[134:135], v[20:21]
	v_add_f64 v[20:21], v[20:21], -v[22:23]
	v_add_f64 v[16:17], v[16:17], -v[18:19]
	v_add_f64 v[52:53], v[36:37], v[2:3]
	v_fma_f64 v[24:25], v[24:25], -0.5, v[136:137]
	v_fma_f64 v[26:27], v[26:27], -0.5, v[138:139]
	;; [unrolled: 1-line block ×3, first 2 shown]
	v_add_f64 v[54:55], v[4:5], v[6:7]
	v_fma_f64 v[30:31], v[30:31], -0.5, v[130:131]
	v_add_f64 v[56:57], v[40:41], v[10:11]
	v_fma_f64 v[32:33], v[32:33], -0.5, v[132:133]
	v_add_f64 v[58:59], v[42:43], v[14:15]
	v_fma_f64 v[34:35], v[34:35], -0.5, v[134:135]
	v_add_f64 v[60:61], v[44:45], v[18:19]
	v_add_f64 v[62:63], v[46:47], v[22:23]
	v_fma_f64 v[64:65], v[38:39], s[0:1], v[24:25]
	v_fma_f64 v[68:69], v[38:39], s[8:9], v[24:25]
	;; [unrolled: 1-line block ×12, first 2 shown]
	ds_store_b128 v172, v[52:55]
	ds_store_b128 v172, v[64:67] offset:176
	ds_store_b128 v172, v[68:71] offset:352
	ds_store_b128 v167, v[56:59]
	ds_store_b128 v167, v[72:75] offset:176
	ds_store_b128 v167, v[128:131] offset:352
	;; [unrolled: 3-line block ×3, first 2 shown]
	s_and_saveexec_b32 s10, vcc_lo
	s_cbranch_execz .LBB0_9
; %bb.8:
	s_clause 0x2
	scratch_load_b128 v[12:15], off, off offset:236
	scratch_load_b128 v[8:11], off, off offset:220
	;; [unrolled: 1-line block ×3, first 2 shown]
	s_waitcnt vmcnt(2)
	v_mul_f64 v[4:5], v[14:15], v[126:127]
	s_waitcnt vmcnt(0)
	v_mul_f64 v[6:7], v[10:11], v[18:19]
	v_mul_f64 v[0:1], v[14:15], v[124:125]
	;; [unrolled: 1-line block ×3, first 2 shown]
	s_delay_alu instid0(VALU_DEP_4) | instskip(NEXT) | instid1(VALU_DEP_4)
	v_fma_f64 v[4:5], v[12:13], v[124:125], v[4:5]
	v_fma_f64 v[6:7], v[8:9], v[16:17], v[6:7]
	s_delay_alu instid0(VALU_DEP_4) | instskip(NEXT) | instid1(VALU_DEP_4)
	v_fma_f64 v[0:1], v[12:13], v[126:127], -v[0:1]
	v_fma_f64 v[2:3], v[8:9], v[18:19], -v[2:3]
	s_delay_alu instid0(VALU_DEP_3) | instskip(NEXT) | instid1(VALU_DEP_3)
	v_add_f64 v[10:11], v[4:5], v[6:7]
	v_add_f64 v[14:15], v[122:123], v[0:1]
	s_delay_alu instid0(VALU_DEP_3)
	v_add_f64 v[8:9], v[0:1], v[2:3]
	v_add_f64 v[0:1], v[0:1], -v[2:3]
	v_add_f64 v[12:13], v[4:5], -v[6:7]
	v_add_f64 v[4:5], v[120:121], v[4:5]
	v_fma_f64 v[10:11], v[10:11], -0.5, v[120:121]
	v_add_f64 v[46:47], v[14:15], v[2:3]
	v_fma_f64 v[8:9], v[8:9], -0.5, v[122:123]
	s_delay_alu instid0(VALU_DEP_4) | instskip(NEXT) | instid1(VALU_DEP_4)
	v_add_f64 v[44:45], v[4:5], v[6:7]
	v_fma_f64 v[52:53], v[0:1], s[0:1], v[10:11]
	v_fma_f64 v[48:49], v[0:1], s[8:9], v[10:11]
	s_clause 0x1
	scratch_load_b32 v0, off, off offset:204
	scratch_load_b32 v1, off, off offset:208
	v_fma_f64 v[54:55], v[12:13], s[8:9], v[8:9]
	v_fma_f64 v[50:51], v[12:13], s[0:1], v[8:9]
	s_waitcnt vmcnt(1)
	v_and_b32_e32 v0, 0xffff, v0
	s_delay_alu instid0(VALU_DEP_1) | instskip(SKIP_1) | instid1(VALU_DEP_1)
	v_mul_u32_u24_e32 v0, 33, v0
	s_waitcnt vmcnt(0)
	v_add_nc_u32_e32 v0, v0, v1
	scratch_load_b32 v1, off, off           ; 4-byte Folded Reload
	s_waitcnt vmcnt(0)
	v_lshl_add_u32 v0, v0, 4, v1
	ds_store_b128 v0, v[44:47]
	ds_store_b128 v0, v[52:55] offset:176
	ds_store_b128 v0, v[48:51] offset:352
.LBB0_9:
	s_or_b32 exec_lo, exec_lo, s10
	s_waitcnt lgkmcnt(0)
	s_barrier
	buffer_gl0_inv
	ds_load_b128 v[44:47], v166 offset:528
	ds_load_b128 v[52:55], v166 offset:5280
	;; [unrolled: 1-line block ×9, first 2 shown]
	s_mov_b32 s0, 0xf8bb580b
	s_mov_b32 s8, 0x8764f0ba
	;; [unrolled: 1-line block ×15, first 2 shown]
	s_waitcnt lgkmcnt(7)
	v_mul_f64 v[4:5], v[78:79], v[52:53]
	s_waitcnt lgkmcnt(6)
	v_mul_f64 v[6:7], v[90:91], v[56:57]
	v_mul_f64 v[0:1], v[86:87], v[46:47]
	;; [unrolled: 1-line block ×3, first 2 shown]
	s_waitcnt lgkmcnt(5)
	v_mul_f64 v[8:9], v[94:95], v[60:61]
	v_mul_f64 v[10:11], v[90:91], v[58:59]
	s_waitcnt lgkmcnt(4)
	v_mul_f64 v[12:13], v[102:103], v[64:65]
	s_waitcnt lgkmcnt(3)
	v_mul_f64 v[14:15], v[110:111], v[68:69]
	v_mul_f64 v[18:19], v[102:103], v[66:67]
	;; [unrolled: 1-line block ×3, first 2 shown]
	s_waitcnt lgkmcnt(2)
	v_mul_f64 v[26:27], v[98:99], v[72:73]
	s_waitcnt lgkmcnt(0)
	v_mul_f64 v[28:29], v[106:107], v[122:123]
	v_mul_f64 v[34:35], v[118:119], v[80:81]
	;; [unrolled: 1-line block ×7, first 2 shown]
	s_mov_b32 s27, 0xbfe4f49e
	s_mov_b32 s30, 0xfd768dbf
	;; [unrolled: 1-line block ×15, first 2 shown]
	v_fma_f64 v[48:49], v[76:77], v[54:55], -v[4:5]
	v_fma_f64 v[4:5], v[88:89], v[58:59], -v[6:7]
	v_fma_f64 v[0:1], v[84:85], v[44:45], v[0:1]
	v_fma_f64 v[2:3], v[84:85], v[46:47], -v[2:3]
	ds_load_b128 v[84:87], v166 offset:3168
	ds_load_b128 v[44:47], v166
	v_fma_f64 v[50:51], v[92:93], v[62:63], -v[8:9]
	v_fma_f64 v[6:7], v[88:89], v[56:57], v[10:11]
	v_fma_f64 v[12:13], v[100:101], v[66:67], -v[12:13]
	v_fma_f64 v[56:57], v[108:109], v[70:71], -v[14:15]
	v_fma_f64 v[14:15], v[100:101], v[64:65], v[18:19]
	v_fma_f64 v[54:55], v[92:93], v[60:61], v[20:21]
	v_fma_f64 v[18:19], v[96:97], v[74:75], -v[26:27]
	v_fma_f64 v[20:21], v[104:105], v[120:121], v[28:29]
	v_fma_f64 v[26:27], v[116:117], v[82:83], -v[34:35]
	v_fma_f64 v[52:53], v[76:77], v[52:53], v[16:17]
	v_fma_f64 v[16:17], v[96:97], v[72:73], v[22:23]
	;; [unrolled: 1-line block ×3, first 2 shown]
	v_fma_f64 v[22:23], v[104:105], v[122:123], -v[30:31]
	v_fma_f64 v[24:25], v[116:117], v[80:81], v[32:33]
	s_waitcnt lgkmcnt(1)
	v_mul_f64 v[36:37], v[114:115], v[86:87]
	v_mul_f64 v[38:39], v[114:115], v[84:85]
	s_waitcnt lgkmcnt(0)
	v_add_f64 v[8:9], v[44:45], v[0:1]
	v_add_f64 v[10:11], v[46:47], v[2:3]
	v_add_f64 v[32:33], v[2:3], -v[48:49]
	v_add_f64 v[2:3], v[2:3], v[48:49]
	v_add_f64 v[34:35], v[4:5], -v[50:51]
	v_add_f64 v[42:43], v[6:7], v[54:55]
	v_add_f64 v[40:41], v[0:1], v[52:53]
	v_add_f64 v[0:1], v[0:1], -v[52:53]
	v_add_f64 v[64:65], v[16:17], v[20:21]
	v_add_f64 v[66:67], v[18:19], v[22:23]
	v_add_f64 v[68:69], v[18:19], -v[22:23]
	v_add_f64 v[70:71], v[16:17], -v[20:21]
	v_add_f64 v[60:61], v[14:15], v[58:59]
	v_add_f64 v[62:63], v[14:15], -v[58:59]
	v_fma_f64 v[28:29], v[112:113], v[84:85], v[36:37]
	v_add_f64 v[36:37], v[4:5], v[50:51]
	v_fma_f64 v[30:31], v[112:113], v[86:87], -v[38:39]
	v_add_f64 v[38:39], v[12:13], v[56:57]
	v_add_f64 v[8:9], v[8:9], v[6:7]
	;; [unrolled: 1-line block ×3, first 2 shown]
	v_mul_f64 v[80:81], v[32:33], s[0:1]
	v_mul_f64 v[82:83], v[2:3], s[8:9]
	;; [unrolled: 1-line block ×10, first 2 shown]
	v_add_f64 v[10:11], v[12:13], -v[56:57]
	v_add_f64 v[6:7], v[6:7], -v[54:55]
	v_mul_f64 v[96:97], v[34:35], s[12:13]
	v_mul_f64 v[100:101], v[34:35], s[24:25]
	;; [unrolled: 1-line block ×8, first 2 shown]
	v_add_f64 v[72:73], v[24:25], v[28:29]
	v_mul_f64 v[98:99], v[36:37], s[14:15]
	v_add_f64 v[74:75], v[26:27], v[30:31]
	v_mul_f64 v[102:103], v[36:37], s[34:35]
	v_mul_f64 v[106:107], v[36:37], s[20:21]
	;; [unrolled: 1-line block ×6, first 2 shown]
	v_add_f64 v[76:77], v[24:25], -v[28:29]
	v_add_f64 v[78:79], v[26:27], -v[30:31]
	v_mul_f64 v[38:39], v[38:39], s[26:27]
	v_mul_f64 v[136:137], v[68:69], s[30:31]
	v_mul_f64 v[138:139], v[66:67], s[34:35]
	v_mul_f64 v[126:127], v[66:67], s[26:27]
	v_mul_f64 v[68:69], v[68:69], s[16:17]
	v_add_f64 v[8:9], v[8:9], v[14:15]
	v_add_f64 v[4:5], v[4:5], v[12:13]
	v_mul_f64 v[12:13], v[36:37], s[26:27]
	v_mul_f64 v[14:15], v[34:35], s[36:37]
	v_fma_f64 v[156:157], v[40:41], s[14:15], v[84:85]
	v_fma_f64 v[158:159], v[0:1], s[16:17], v[86:87]
	v_fma_f64 v[84:85], v[40:41], s[14:15], -v[84:85]
	v_fma_f64 v[160:161], v[40:41], s[20:21], v[88:89]
	v_fma_f64 v[162:163], v[0:1], s[22:23], v[90:91]
	v_fma_f64 v[88:89], v[40:41], s[20:21], -v[88:89]
	v_fma_f64 v[167:168], v[40:41], s[26:27], v[92:93]
	v_fma_f64 v[169:170], v[0:1], s[28:29], v[94:95]
	v_mul_f64 v[34:35], v[34:35], s[10:11]
	v_mul_f64 v[36:37], v[36:37], s[8:9]
	v_fma_f64 v[92:93], v[40:41], s[26:27], -v[92:93]
	v_fma_f64 v[171:172], v[40:41], s[34:35], v[32:33]
	v_fma_f64 v[173:174], v[0:1], s[36:37], v[2:3]
	;; [unrolled: 1-line block ×5, first 2 shown]
	v_fma_f64 v[32:33], v[40:41], s[34:35], -v[32:33]
	v_mul_f64 v[108:109], v[10:11], s[18:19]
	v_mul_f64 v[112:113], v[10:11], s[36:37]
	v_fma_f64 v[175:176], v[42:43], s[26:27], v[100:101]
	v_mul_f64 v[142:143], v[74:75], s[34:35]
	v_mul_f64 v[146:147], v[74:75], s[8:9]
	;; [unrolled: 1-line block ×5, first 2 shown]
	v_fma_f64 v[100:101], v[42:43], s[26:27], -v[100:101]
	v_fma_f64 v[181:182], v[6:7], s[30:31], v[102:103]
	v_mul_f64 v[120:121], v[10:11], s[0:1]
	v_fma_f64 v[183:184], v[42:43], s[20:21], v[104:105]
	v_fma_f64 v[185:186], v[6:7], s[18:19], v[106:107]
	v_mul_f64 v[10:11], v[10:11], s[24:25]
	v_fma_f64 v[104:105], v[42:43], s[20:21], -v[104:105]
	v_fma_f64 v[102:103], v[6:7], s[36:37], v[102:103]
	v_fma_f64 v[189:190], v[62:63], s[30:31], v[114:115]
	v_add_f64 v[8:9], v[8:9], v[16:17]
	v_add_f64 v[4:5], v[4:5], v[18:19]
	v_mul_f64 v[16:17], v[74:75], s[20:21]
	v_fma_f64 v[18:19], v[40:41], s[8:9], v[80:81]
	v_fma_f64 v[74:75], v[0:1], s[10:11], v[82:83]
	v_fma_f64 v[80:81], v[40:41], s[8:9], -v[80:81]
	v_fma_f64 v[82:83], v[0:1], s[0:1], v[82:83]
	v_fma_f64 v[0:1], v[0:1], s[30:31], v[2:3]
	;; [unrolled: 1-line block ×4, first 2 shown]
	v_fma_f64 v[96:97], v[42:43], s[14:15], -v[96:97]
	v_fma_f64 v[98:99], v[6:7], s[12:13], v[98:99]
	v_fma_f64 v[177:178], v[6:7], s[28:29], v[12:13]
	v_add_f64 v[156:157], v[44:45], v[156:157]
	v_add_f64 v[158:159], v[46:47], v[158:159]
	v_fma_f64 v[179:180], v[42:43], s[34:35], v[14:15]
	v_add_f64 v[84:85], v[44:45], v[84:85]
	v_add_f64 v[160:161], v[44:45], v[160:161]
	;; [unrolled: 1-line block ×3, first 2 shown]
	v_fma_f64 v[14:15], v[42:43], s[34:35], -v[14:15]
	v_add_f64 v[88:89], v[44:45], v[88:89]
	v_add_f64 v[167:168], v[44:45], v[167:168]
	;; [unrolled: 1-line block ×6, first 2 shown]
	v_fma_f64 v[12:13], v[6:7], s[24:25], v[12:13]
	v_add_f64 v[32:33], v[44:45], v[32:33]
	v_add_f64 v[90:91], v[46:47], v[90:91]
	;; [unrolled: 1-line block ×3, first 2 shown]
	v_fma_f64 v[187:188], v[60:61], s[34:35], v[112:113]
	v_fma_f64 v[191:192], v[60:61], s[14:15], v[116:117]
	;; [unrolled: 1-line block ×3, first 2 shown]
	v_fma_f64 v[112:113], v[60:61], s[34:35], -v[112:113]
	v_fma_f64 v[116:117], v[60:61], s[14:15], -v[116:117]
	v_mul_f64 v[66:67], v[66:67], s[14:15]
	v_fma_f64 v[118:119], v[62:63], s[16:17], v[118:119]
	v_fma_f64 v[114:115], v[62:63], s[36:37], v[114:115]
	v_add_f64 v[8:9], v[8:9], v[24:25]
	v_add_f64 v[4:5], v[4:5], v[26:27]
	v_fma_f64 v[24:25], v[6:7], s[22:23], v[106:107]
	v_add_f64 v[18:19], v[44:45], v[18:19]
	v_fma_f64 v[26:27], v[42:43], s[8:9], v[34:35]
	v_add_f64 v[80:81], v[44:45], v[80:81]
	v_add_f64 v[82:83], v[46:47], v[82:83]
	v_fma_f64 v[106:107], v[6:7], s[0:1], v[36:37]
	v_fma_f64 v[34:35], v[42:43], s[8:9], -v[34:35]
	v_fma_f64 v[6:7], v[6:7], s[10:11], v[36:37]
	v_add_f64 v[0:1], v[46:47], v[0:1]
	v_add_f64 v[44:45], v[46:47], v[94:95]
	v_fma_f64 v[36:37], v[60:61], s[20:21], v[108:109]
	v_fma_f64 v[42:43], v[62:63], s[22:23], v[110:111]
	;; [unrolled: 1-line block ×4, first 2 shown]
	v_add_f64 v[84:85], v[100:101], v[84:85]
	v_fma_f64 v[108:109], v[60:61], s[20:21], -v[108:109]
	v_add_f64 v[100:101], v[181:182], v[162:163]
	v_mul_f64 v[144:145], v[78:79], s[10:11]
	v_add_f64 v[14:15], v[14:15], v[88:89]
	v_add_f64 v[88:89], v[183:184], v[167:168]
	v_fma_f64 v[195:196], v[64:65], s[20:21], v[128:129]
	v_add_f64 v[92:93], v[104:105], v[92:93]
	v_fma_f64 v[197:198], v[70:71], s[18:19], v[130:131]
	v_mul_f64 v[140:141], v[78:79], s[30:31]
	v_mul_f64 v[148:149], v[78:79], s[24:25]
	;; [unrolled: 1-line block ×3, first 2 shown]
	v_fma_f64 v[128:129], v[64:65], s[20:21], -v[128:129]
	v_add_f64 v[12:13], v[12:13], v[86:87]
	v_fma_f64 v[86:87], v[70:71], s[36:37], v[138:139]
	v_mul_f64 v[78:79], v[78:79], s[18:19]
	v_fma_f64 v[130:131], v[70:71], s[22:23], v[130:131]
	v_add_f64 v[8:9], v[8:9], v[28:29]
	v_add_f64 v[4:5], v[4:5], v[30:31]
	;; [unrolled: 1-line block ×4, first 2 shown]
	v_fma_f64 v[30:31], v[60:61], s[8:9], v[120:121]
	v_add_f64 v[18:19], v[96:97], v[80:81]
	v_add_f64 v[80:81], v[98:99], v[82:83]
	;; [unrolled: 1-line block ×5, first 2 shown]
	v_fma_f64 v[46:47], v[62:63], s[10:11], v[122:123]
	v_add_f64 v[156:157], v[185:186], v[169:170]
	v_fma_f64 v[74:75], v[60:61], s[8:9], -v[120:121]
	v_fma_f64 v[120:121], v[60:61], s[26:27], v[10:11]
	v_fma_f64 v[122:123], v[62:63], s[28:29], v[38:39]
	v_add_f64 v[26:27], v[26:27], v[171:172]
	v_add_f64 v[104:105], v[106:107], v[173:174]
	v_fma_f64 v[10:11], v[60:61], s[26:27], -v[10:11]
	v_fma_f64 v[38:39], v[62:63], s[24:25], v[38:39]
	v_add_f64 v[32:33], v[34:35], v[32:33]
	v_add_f64 v[0:1], v[6:7], v[0:1]
	;; [unrolled: 1-line block ×4, first 2 shown]
	v_fma_f64 v[60:61], v[64:65], s[26:27], v[124:125]
	v_fma_f64 v[34:35], v[64:65], s[8:9], -v[132:133]
	v_fma_f64 v[44:45], v[64:65], s[34:35], v[136:137]
	v_add_f64 v[84:85], v[112:113], v[84:85]
	v_add_f64 v[14:15], v[116:117], v[14:15]
	v_fma_f64 v[106:107], v[64:65], s[14:15], v[68:69]
	v_fma_f64 v[124:125], v[64:65], s[26:27], -v[124:125]
	v_fma_f64 v[90:91], v[64:65], s[34:35], -v[136:137]
	v_fma_f64 v[102:103], v[70:71], s[30:31], v[138:139]
	v_add_f64 v[12:13], v[114:115], v[12:13]
	v_fma_f64 v[62:63], v[70:71], s[28:29], v[126:127]
	v_fma_f64 v[126:127], v[70:71], s[24:25], v[126:127]
	;; [unrolled: 1-line block ×5, first 2 shown]
	v_add_f64 v[8:9], v[8:9], v[20:21]
	v_add_f64 v[4:5], v[4:5], v[22:23]
	;; [unrolled: 1-line block ×4, first 2 shown]
	v_fma_f64 v[22:23], v[64:65], s[8:9], v[132:133]
	v_fma_f64 v[28:29], v[70:71], s[10:11], v[134:135]
	v_add_f64 v[36:37], v[110:111], v[80:81]
	v_add_f64 v[80:81], v[187:188], v[82:83]
	;; [unrolled: 1-line block ×7, first 2 shown]
	v_fma_f64 v[132:133], v[70:71], s[12:13], v[66:67]
	v_fma_f64 v[64:65], v[64:65], s[14:15], -v[68:69]
	v_add_f64 v[26:27], v[120:121], v[26:27]
	v_add_f64 v[88:89], v[122:123], v[104:105]
	v_fma_f64 v[66:67], v[70:71], s[16:17], v[66:67]
	v_add_f64 v[74:75], v[74:75], v[92:93]
	v_add_f64 v[10:11], v[10:11], v[32:33]
	;; [unrolled: 1-line block ×4, first 2 shown]
	v_fma_f64 v[40:41], v[70:71], s[0:1], v[134:135]
	v_add_f64 v[18:19], v[108:109], v[18:19]
	v_add_f64 v[24:25], v[118:119], v[24:25]
	v_fma_f64 v[32:33], v[72:73], s[8:9], v[144:145]
	v_fma_f64 v[38:39], v[76:77], s[0:1], v[146:147]
	;; [unrolled: 1-line block ×11, first 2 shown]
	v_add_f64 v[76:77], v[128:129], v[84:85]
	v_add_f64 v[14:15], v[34:35], v[14:15]
	;; [unrolled: 1-line block ×6, first 2 shown]
	v_fma_f64 v[42:43], v[72:73], s[8:9], -v[144:145]
	v_fma_f64 v[118:119], v[72:73], s[20:21], v[78:79]
	v_fma_f64 v[70:71], v[72:73], s[34:35], -v[140:141]
	v_add_f64 v[58:59], v[195:196], v[80:81]
	v_add_f64 v[60:61], v[197:198], v[82:83]
	v_add_f64 v[22:23], v[22:23], v[96:97]
	v_add_f64 v[28:29], v[28:29], v[98:99]
	v_add_f64 v[30:31], v[44:45], v[30:31]
	v_add_f64 v[34:35], v[86:87], v[46:47]
	v_fma_f64 v[104:105], v[72:73], s[26:27], -v[148:149]
	v_fma_f64 v[114:115], v[72:73], s[14:15], -v[152:153]
	v_add_f64 v[26:27], v[106:107], v[26:27]
	v_add_f64 v[80:81], v[132:133], v[88:89]
	v_fma_f64 v[72:73], v[72:73], s[20:21], -v[78:79]
	v_add_f64 v[46:47], v[90:91], v[74:75]
	v_add_f64 v[10:11], v[64:65], v[10:11]
	;; [unrolled: 1-line block ×8, first 2 shown]
	s_mul_i32 s0, s5, 0x210
	s_mul_hi_u32 s1, s4, 0x210
	v_add_f64 v[8:9], v[8:9], v[54:55]
	v_add_f64 v[4:5], v[4:5], v[50:51]
	;; [unrolled: 1-line block ×22, first 2 shown]
	scratch_load_b32 v7, off, off offset:116 ; 4-byte Folded Reload
	v_mad_u64_u32 v[0:1], null, s6, v164, 0
	v_add_f64 v[50:51], v[8:9], v[52:53]
	v_add_f64 v[52:53], v[4:5], v[48:49]
	;; [unrolled: 1-line block ×3, first 2 shown]
	ds_store_b128 v166, v[58:61] offset:1056
	ds_store_b128 v166, v[66:69] offset:1584
	;; [unrolled: 1-line block ×9, first 2 shown]
	ds_store_b128 v166, v[50:53]
	ds_store_b128 v166, v[44:47] offset:528
	s_waitcnt vmcnt(0) lgkmcnt(0)
	s_barrier
	buffer_gl0_inv
	ds_load_b128 v[44:47], v166
	ds_load_b128 v[48:51], v166 offset:528
	ds_load_b128 v[52:55], v166 offset:1056
	;; [unrolled: 1-line block ×10, first 2 shown]
	s_clause 0x1
	scratch_load_b128 v[96:99], off, off offset:20
	scratch_load_b128 v[116:119], off, off offset:168
	v_mad_u64_u32 v[2:3], null, s4, v7, 0
	s_delay_alu instid0(VALU_DEP_1) | instskip(NEXT) | instid1(VALU_DEP_1)
	v_mad_u64_u32 v[4:5], null, s7, v164, v[1:2]
	v_mad_u64_u32 v[5:6], null, s5, v7, v[3:4]
	v_mov_b32_e32 v1, v4
	s_delay_alu instid0(VALU_DEP_1) | instskip(NEXT) | instid1(VALU_DEP_3)
	v_lshlrev_b64 v[0:1], 4, v[0:1]
	v_mov_b32_e32 v3, v5
	s_delay_alu instid0(VALU_DEP_1) | instskip(NEXT) | instid1(VALU_DEP_3)
	v_lshlrev_b64 v[2:3], 4, v[2:3]
	v_add_co_u32 v0, vcc_lo, s2, v0
	s_delay_alu instid0(VALU_DEP_4) | instskip(SKIP_1) | instid1(VALU_DEP_2)
	v_add_co_ci_u32_e32 v1, vcc_lo, s3, v1, vcc_lo
	s_mul_i32 s2, s4, 0x210
	v_add_co_u32 v92, vcc_lo, v0, v2
	s_delay_alu instid0(VALU_DEP_2) | instskip(SKIP_1) | instid1(VALU_DEP_2)
	v_add_co_ci_u32_e32 v93, vcc_lo, v1, v3, vcc_lo
	s_add_i32 s3, s1, s0
	v_add_co_u32 v94, vcc_lo, v92, s2
	s_delay_alu instid0(VALU_DEP_2)
	v_add_co_ci_u32_e32 v95, vcc_lo, s3, v93, vcc_lo
	s_mov_b32 s0, 0x3a88d0c0
	s_mov_b32 s1, 0x3f669147
	s_waitcnt vmcnt(1) lgkmcnt(10)
	v_mul_f64 v[4:5], v[98:99], v[46:47]
	v_mul_f64 v[6:7], v[98:99], v[44:45]
	scratch_load_b128 v[98:101], off, off offset:36 ; 16-byte Folded Reload
	s_waitcnt vmcnt(1) lgkmcnt(2)
	v_mul_f64 v[36:37], v[118:119], v[78:79]
	v_mul_f64 v[38:39], v[118:119], v[76:77]
	scratch_load_b128 v[118:121], off, off offset:184 ; 16-byte Folded Reload
	v_fma_f64 v[0:1], v[96:97], v[44:45], v[4:5]
	v_fma_f64 v[2:3], v[96:97], v[46:47], -v[6:7]
	v_add_co_u32 v44, vcc_lo, v94, s2
	v_add_co_ci_u32_e32 v45, vcc_lo, s3, v95, vcc_lo
	s_delay_alu instid0(VALU_DEP_2) | instskip(NEXT) | instid1(VALU_DEP_2)
	v_add_co_u32 v46, vcc_lo, v44, s2
	v_add_co_ci_u32_e32 v47, vcc_lo, s3, v45, vcc_lo
	v_mul_f64 v[0:1], v[0:1], s[0:1]
	v_mul_f64 v[2:3], v[2:3], s[0:1]
	s_waitcnt vmcnt(1)
	v_mul_f64 v[8:9], v[100:101], v[50:51]
	v_mul_f64 v[10:11], v[100:101], v[48:49]
	scratch_load_b128 v[100:103], off, off offset:52 ; 16-byte Folded Reload
	s_waitcnt vmcnt(1) lgkmcnt(0)
	v_mul_f64 v[88:89], v[120:121], v[86:87]
	v_mul_f64 v[90:91], v[120:121], v[84:85]
	v_fma_f64 v[4:5], v[98:99], v[48:49], v[8:9]
	v_fma_f64 v[6:7], v[98:99], v[50:51], -v[10:11]
	v_add_co_u32 v48, vcc_lo, v46, s2
	v_add_co_ci_u32_e32 v49, vcc_lo, s3, v47, vcc_lo
	s_delay_alu instid0(VALU_DEP_2) | instskip(NEXT) | instid1(VALU_DEP_2)
	v_add_co_u32 v50, vcc_lo, v48, s2
	v_add_co_ci_u32_e32 v51, vcc_lo, s3, v49, vcc_lo
	v_mul_f64 v[4:5], v[4:5], s[0:1]
	v_mul_f64 v[6:7], v[6:7], s[0:1]
	s_waitcnt vmcnt(0)
	v_mul_f64 v[12:13], v[102:103], v[54:55]
	v_mul_f64 v[14:15], v[102:103], v[52:53]
	scratch_load_b128 v[102:105], off, off offset:68 ; 16-byte Folded Reload
	v_fma_f64 v[8:9], v[100:101], v[52:53], v[12:13]
	v_fma_f64 v[10:11], v[100:101], v[54:55], -v[14:15]
	v_add_co_u32 v52, vcc_lo, v50, s2
	v_add_co_ci_u32_e32 v53, vcc_lo, s3, v51, vcc_lo
	s_delay_alu instid0(VALU_DEP_2) | instskip(NEXT) | instid1(VALU_DEP_2)
	v_add_co_u32 v54, vcc_lo, v52, s2
	v_add_co_ci_u32_e32 v55, vcc_lo, s3, v53, vcc_lo
	v_mul_f64 v[8:9], v[8:9], s[0:1]
	v_mul_f64 v[10:11], v[10:11], s[0:1]
	s_waitcnt vmcnt(0)
	v_mul_f64 v[16:17], v[104:105], v[58:59]
	v_mul_f64 v[18:19], v[104:105], v[56:57]
	scratch_load_b128 v[104:107], off, off offset:84 ; 16-byte Folded Reload
	;; [unrolled: 13-line block ×3, first 2 shown]
	v_fma_f64 v[16:17], v[104:105], v[60:61], v[20:21]
	v_fma_f64 v[18:19], v[104:105], v[62:63], -v[22:23]
	v_add_co_u32 v60, vcc_lo, v58, s2
	v_add_co_ci_u32_e32 v61, vcc_lo, s3, v59, vcc_lo
	s_delay_alu instid0(VALU_DEP_4) | instskip(NEXT) | instid1(VALU_DEP_4)
	v_mul_f64 v[16:17], v[16:17], s[0:1]
	v_mul_f64 v[18:19], v[18:19], s[0:1]
	s_waitcnt vmcnt(0)
	v_mul_f64 v[24:25], v[108:109], v[66:67]
	v_mul_f64 v[26:27], v[108:109], v[64:65]
	scratch_load_b128 v[108:111], off, off offset:120 ; 16-byte Folded Reload
	v_fma_f64 v[20:21], v[106:107], v[64:65], v[24:25]
	v_fma_f64 v[22:23], v[106:107], v[66:67], -v[26:27]
	s_delay_alu instid0(VALU_DEP_2) | instskip(NEXT) | instid1(VALU_DEP_2)
	v_mul_f64 v[20:21], v[20:21], s[0:1]
	v_mul_f64 v[22:23], v[22:23], s[0:1]
	s_waitcnt vmcnt(0)
	v_mul_f64 v[28:29], v[110:111], v[70:71]
	v_mul_f64 v[30:31], v[110:111], v[68:69]
	scratch_load_b128 v[110:113], off, off offset:136 ; 16-byte Folded Reload
	v_fma_f64 v[24:25], v[108:109], v[68:69], v[28:29]
	v_fma_f64 v[26:27], v[108:109], v[70:71], -v[30:31]
	s_delay_alu instid0(VALU_DEP_2) | instskip(NEXT) | instid1(VALU_DEP_2)
	v_mul_f64 v[24:25], v[24:25], s[0:1]
	v_mul_f64 v[26:27], v[26:27], s[0:1]
	s_waitcnt vmcnt(0)
	v_mul_f64 v[32:33], v[112:113], v[74:75]
	v_mul_f64 v[34:35], v[112:113], v[72:73]
	scratch_load_b128 v[112:115], off, off offset:152 ; 16-byte Folded Reload
	v_fma_f64 v[28:29], v[110:111], v[72:73], v[32:33]
	v_fma_f64 v[30:31], v[110:111], v[74:75], -v[34:35]
	v_fma_f64 v[32:33], v[116:117], v[76:77], v[36:37]
	v_fma_f64 v[34:35], v[116:117], v[78:79], -v[38:39]
	s_delay_alu instid0(VALU_DEP_4) | instskip(NEXT) | instid1(VALU_DEP_4)
	v_mul_f64 v[28:29], v[28:29], s[0:1]
	v_mul_f64 v[30:31], v[30:31], s[0:1]
	s_delay_alu instid0(VALU_DEP_4) | instskip(NEXT) | instid1(VALU_DEP_4)
	v_mul_f64 v[32:33], v[32:33], s[0:1]
	v_mul_f64 v[34:35], v[34:35], s[0:1]
	s_waitcnt vmcnt(0)
	v_mul_f64 v[40:41], v[114:115], v[82:83]
	v_mul_f64 v[42:43], v[114:115], v[80:81]
	s_delay_alu instid0(VALU_DEP_2) | instskip(NEXT) | instid1(VALU_DEP_2)
	v_fma_f64 v[36:37], v[112:113], v[80:81], v[40:41]
	v_fma_f64 v[38:39], v[112:113], v[82:83], -v[42:43]
	v_fma_f64 v[40:41], v[118:119], v[84:85], v[88:89]
	v_fma_f64 v[42:43], v[118:119], v[86:87], -v[90:91]
	s_delay_alu instid0(VALU_DEP_4) | instskip(NEXT) | instid1(VALU_DEP_4)
	v_mul_f64 v[36:37], v[36:37], s[0:1]
	v_mul_f64 v[38:39], v[38:39], s[0:1]
	s_delay_alu instid0(VALU_DEP_4) | instskip(NEXT) | instid1(VALU_DEP_4)
	v_mul_f64 v[40:41], v[40:41], s[0:1]
	v_mul_f64 v[42:43], v[42:43], s[0:1]
	s_clause 0x4
	global_store_b128 v[92:93], v[0:3], off
	global_store_b128 v[94:95], v[4:7], off
	;; [unrolled: 1-line block ×11, first 2 shown]
.LBB0_10:
	s_nop 0
	s_sendmsg sendmsg(MSG_DEALLOC_VGPRS)
	s_endpgm
	.section	.rodata,"a",@progbits
	.p2align	6, 0x0
	.amdhsa_kernel bluestein_single_back_len363_dim1_dp_op_CI_CI
		.amdhsa_group_segment_fixed_size 17424
		.amdhsa_private_segment_fixed_size 256
		.amdhsa_kernarg_size 104
		.amdhsa_user_sgpr_count 15
		.amdhsa_user_sgpr_dispatch_ptr 0
		.amdhsa_user_sgpr_queue_ptr 0
		.amdhsa_user_sgpr_kernarg_segment_ptr 1
		.amdhsa_user_sgpr_dispatch_id 0
		.amdhsa_user_sgpr_private_segment_size 0
		.amdhsa_wavefront_size32 1
		.amdhsa_uses_dynamic_stack 0
		.amdhsa_enable_private_segment 1
		.amdhsa_system_sgpr_workgroup_id_x 1
		.amdhsa_system_sgpr_workgroup_id_y 0
		.amdhsa_system_sgpr_workgroup_id_z 0
		.amdhsa_system_sgpr_workgroup_info 0
		.amdhsa_system_vgpr_workitem_id 0
		.amdhsa_next_free_vgpr 256
		.amdhsa_next_free_sgpr 38
		.amdhsa_reserve_vcc 1
		.amdhsa_float_round_mode_32 0
		.amdhsa_float_round_mode_16_64 0
		.amdhsa_float_denorm_mode_32 3
		.amdhsa_float_denorm_mode_16_64 3
		.amdhsa_dx10_clamp 1
		.amdhsa_ieee_mode 1
		.amdhsa_fp16_overflow 0
		.amdhsa_workgroup_processor_mode 1
		.amdhsa_memory_ordered 1
		.amdhsa_forward_progress 0
		.amdhsa_shared_vgpr_count 0
		.amdhsa_exception_fp_ieee_invalid_op 0
		.amdhsa_exception_fp_denorm_src 0
		.amdhsa_exception_fp_ieee_div_zero 0
		.amdhsa_exception_fp_ieee_overflow 0
		.amdhsa_exception_fp_ieee_underflow 0
		.amdhsa_exception_fp_ieee_inexact 0
		.amdhsa_exception_int_div_zero 0
	.end_amdhsa_kernel
	.text
.Lfunc_end0:
	.size	bluestein_single_back_len363_dim1_dp_op_CI_CI, .Lfunc_end0-bluestein_single_back_len363_dim1_dp_op_CI_CI
                                        ; -- End function
	.section	.AMDGPU.csdata,"",@progbits
; Kernel info:
; codeLenInByte = 18284
; NumSgprs: 40
; NumVgprs: 256
; ScratchSize: 256
; MemoryBound: 0
; FloatMode: 240
; IeeeMode: 1
; LDSByteSize: 17424 bytes/workgroup (compile time only)
; SGPRBlocks: 4
; VGPRBlocks: 31
; NumSGPRsForWavesPerEU: 40
; NumVGPRsForWavesPerEU: 256
; Occupancy: 5
; WaveLimiterHint : 1
; COMPUTE_PGM_RSRC2:SCRATCH_EN: 1
; COMPUTE_PGM_RSRC2:USER_SGPR: 15
; COMPUTE_PGM_RSRC2:TRAP_HANDLER: 0
; COMPUTE_PGM_RSRC2:TGID_X_EN: 1
; COMPUTE_PGM_RSRC2:TGID_Y_EN: 0
; COMPUTE_PGM_RSRC2:TGID_Z_EN: 0
; COMPUTE_PGM_RSRC2:TIDIG_COMP_CNT: 0
	.text
	.p2alignl 7, 3214868480
	.fill 96, 4, 3214868480
	.type	__hip_cuid_bd0affbd6d1062be,@object ; @__hip_cuid_bd0affbd6d1062be
	.section	.bss,"aw",@nobits
	.globl	__hip_cuid_bd0affbd6d1062be
__hip_cuid_bd0affbd6d1062be:
	.byte	0                               ; 0x0
	.size	__hip_cuid_bd0affbd6d1062be, 1

	.ident	"AMD clang version 19.0.0git (https://github.com/RadeonOpenCompute/llvm-project roc-6.4.0 25133 c7fe45cf4b819c5991fe208aaa96edf142730f1d)"
	.section	".note.GNU-stack","",@progbits
	.addrsig
	.addrsig_sym __hip_cuid_bd0affbd6d1062be
	.amdgpu_metadata
---
amdhsa.kernels:
  - .args:
      - .actual_access:  read_only
        .address_space:  global
        .offset:         0
        .size:           8
        .value_kind:     global_buffer
      - .actual_access:  read_only
        .address_space:  global
        .offset:         8
        .size:           8
        .value_kind:     global_buffer
      - .actual_access:  read_only
        .address_space:  global
        .offset:         16
        .size:           8
        .value_kind:     global_buffer
      - .actual_access:  read_only
        .address_space:  global
        .offset:         24
        .size:           8
        .value_kind:     global_buffer
      - .actual_access:  read_only
        .address_space:  global
        .offset:         32
        .size:           8
        .value_kind:     global_buffer
      - .offset:         40
        .size:           8
        .value_kind:     by_value
      - .address_space:  global
        .offset:         48
        .size:           8
        .value_kind:     global_buffer
      - .address_space:  global
        .offset:         56
        .size:           8
        .value_kind:     global_buffer
      - .address_space:  global
        .offset:         64
        .size:           8
        .value_kind:     global_buffer
      - .address_space:  global
        .offset:         72
        .size:           8
        .value_kind:     global_buffer
      - .offset:         80
        .size:           4
        .value_kind:     by_value
      - .address_space:  global
        .offset:         88
        .size:           8
        .value_kind:     global_buffer
      - .address_space:  global
        .offset:         96
        .size:           8
        .value_kind:     global_buffer
    .group_segment_fixed_size: 17424
    .kernarg_segment_align: 8
    .kernarg_segment_size: 104
    .language:       OpenCL C
    .language_version:
      - 2
      - 0
    .max_flat_workgroup_size: 99
    .name:           bluestein_single_back_len363_dim1_dp_op_CI_CI
    .private_segment_fixed_size: 256
    .sgpr_count:     40
    .sgpr_spill_count: 0
    .symbol:         bluestein_single_back_len363_dim1_dp_op_CI_CI.kd
    .uniform_work_group_size: 1
    .uses_dynamic_stack: false
    .vgpr_count:     256
    .vgpr_spill_count: 67
    .wavefront_size: 32
    .workgroup_processor_mode: 1
amdhsa.target:   amdgcn-amd-amdhsa--gfx1100
amdhsa.version:
  - 1
  - 2
...

	.end_amdgpu_metadata
